;; amdgpu-corpus repo=ROCm/rocSPARSE kind=compiled arch=gfx1250 opt=O3
	.amdgcn_target "amdgcn-amd-amdhsa--gfx1250"
	.amdhsa_code_object_version 6
	.section	.text._ZN9rocsparseL20coo2dense_aos_kernelILj512EiDF16_EEvT0_S1_ll21rocsparse_index_base_PKT1_PKS1_PS3_16rocsparse_order_,"axG",@progbits,_ZN9rocsparseL20coo2dense_aos_kernelILj512EiDF16_EEvT0_S1_ll21rocsparse_index_base_PKT1_PKS1_PS3_16rocsparse_order_,comdat
	.globl	_ZN9rocsparseL20coo2dense_aos_kernelILj512EiDF16_EEvT0_S1_ll21rocsparse_index_base_PKT1_PKS1_PS3_16rocsparse_order_ ; -- Begin function _ZN9rocsparseL20coo2dense_aos_kernelILj512EiDF16_EEvT0_S1_ll21rocsparse_index_base_PKT1_PKS1_PS3_16rocsparse_order_
	.p2align	8
	.type	_ZN9rocsparseL20coo2dense_aos_kernelILj512EiDF16_EEvT0_S1_ll21rocsparse_index_base_PKT1_PKS1_PS3_16rocsparse_order_,@function
_ZN9rocsparseL20coo2dense_aos_kernelILj512EiDF16_EEvT0_S1_ll21rocsparse_index_base_PKT1_PKS1_PS3_16rocsparse_order_: ; @_ZN9rocsparseL20coo2dense_aos_kernelILj512EiDF16_EEvT0_S1_ll21rocsparse_index_base_PKT1_PKS1_PS3_16rocsparse_order_
; %bb.0:
	s_load_b128 s[4:7], s[0:1], 0x8
	s_bfe_u32 s2, ttmp6, 0x4000c
	s_and_b32 s3, ttmp6, 15
	s_add_co_i32 s2, s2, 1
	s_getreg_b32 s8, hwreg(HW_REG_IB_STS2, 6, 4)
	s_mul_i32 s2, ttmp9, s2
	v_mov_b32_e32 v3, 0
	s_add_co_i32 s3, s3, s2
	s_cmp_eq_u32 s8, 0
	s_mov_b32 s2, 0
	s_cselect_b32 s15, ttmp9, s3
	s_mov_b32 s3, exec_lo
	v_lshl_or_b32 v2, s15, 9, v0
	s_wait_kmcnt 0x0
	s_delay_alu instid0(VALU_DEP_1)
	v_cmpx_gt_i64_e64 s[4:5], v[2:3]
	s_cbranch_execz .LBB0_3
; %bb.1:
	s_clause 0x3
	s_load_b32 s16, s[0:1], 0x40
	s_load_b96 s[12:14], s[0:1], 0x30
	s_load_b32 s3, s[0:1], 0x18
	s_load_b128 s[8:11], s[0:1], 0x20
	v_mov_b64_e32 v[4:5], v[2:3]
	s_wait_kmcnt 0x0
	s_lshl_b32 s1, s16, 9
	s_delay_alu instid0(SALU_CYCLE_1) | instskip(SKIP_2) | instid1(VALU_DEP_1)
	v_dual_lshlrev_b32 v1, 1, v0 :: v_dual_add_nc_u32 v0, s1, v2
	s_cmp_eq_u32 s14, 1
	s_cselect_b32 vcc_lo, -1, 0
	v_lshl_or_b32 v2, s15, 10, v1
	s_lshl_b32 s14, s16, 10
.LBB0_2:                                ; =>This Inner Loop Header: Depth=1
	s_delay_alu instid0(VALU_DEP_1)
	v_lshl_add_u64 v[6:7], v[2:3], 2, s[10:11]
	v_lshl_add_u64 v[4:5], v[4:5], 1, s[8:9]
	v_add_nc_u32_e32 v2, s14, v2
	global_load_b64 v[6:7], v[6:7], off
	global_load_u16 v10, v[4:5], off
	s_wait_loadcnt 0x1
	v_subrev_nc_u32_e32 v1, s3, v6
	s_wait_xcnt 0x1
	v_subrev_nc_u32_e32 v6, s3, v7
	s_wait_xcnt 0x0
	s_delay_alu instid0(VALU_DEP_1) | instskip(NEXT) | instid1(VALU_DEP_1)
	v_dual_cndmask_b32 v4, v1, v6, vcc_lo :: v_dual_cndmask_b32 v6, v6, v1, vcc_lo
	v_dual_mov_b32 v1, v3 :: v_dual_ashrrev_i32 v5, 31, v4
	s_delay_alu instid0(VALU_DEP_2) | instskip(NEXT) | instid1(VALU_DEP_2)
	v_ashrrev_i32_e32 v7, 31, v6
	v_cmp_le_u64_e64 s0, s[4:5], v[0:1]
	s_delay_alu instid0(VALU_DEP_3) | instskip(SKIP_1) | instid1(VALU_DEP_1)
	v_mul_u64_e32 v[4:5], s[6:7], v[4:5]
	s_or_b32 s2, s0, s2
	v_lshl_add_u64 v[8:9], v[4:5], 1, s[12:13]
	v_mov_b64_e32 v[4:5], v[0:1]
	v_add_nc_u32_e32 v0, s1, v0
	s_delay_alu instid0(VALU_DEP_3)
	v_lshl_add_u64 v[6:7], v[6:7], 1, v[8:9]
	s_wait_loadcnt 0x0
	global_store_b16 v[6:7], v10, off
	s_wait_xcnt 0x0
	s_and_not1_b32 exec_lo, exec_lo, s2
	s_cbranch_execnz .LBB0_2
.LBB0_3:
	s_endpgm
	.section	.rodata,"a",@progbits
	.p2align	6, 0x0
	.amdhsa_kernel _ZN9rocsparseL20coo2dense_aos_kernelILj512EiDF16_EEvT0_S1_ll21rocsparse_index_base_PKT1_PKS1_PS3_16rocsparse_order_
		.amdhsa_group_segment_fixed_size 0
		.amdhsa_private_segment_fixed_size 0
		.amdhsa_kernarg_size 320
		.amdhsa_user_sgpr_count 2
		.amdhsa_user_sgpr_dispatch_ptr 0
		.amdhsa_user_sgpr_queue_ptr 0
		.amdhsa_user_sgpr_kernarg_segment_ptr 1
		.amdhsa_user_sgpr_dispatch_id 0
		.amdhsa_user_sgpr_kernarg_preload_length 0
		.amdhsa_user_sgpr_kernarg_preload_offset 0
		.amdhsa_user_sgpr_private_segment_size 0
		.amdhsa_wavefront_size32 1
		.amdhsa_uses_dynamic_stack 0
		.amdhsa_enable_private_segment 0
		.amdhsa_system_sgpr_workgroup_id_x 1
		.amdhsa_system_sgpr_workgroup_id_y 0
		.amdhsa_system_sgpr_workgroup_id_z 0
		.amdhsa_system_sgpr_workgroup_info 0
		.amdhsa_system_vgpr_workitem_id 0
		.amdhsa_next_free_vgpr 11
		.amdhsa_next_free_sgpr 17
		.amdhsa_named_barrier_count 0
		.amdhsa_reserve_vcc 1
		.amdhsa_float_round_mode_32 0
		.amdhsa_float_round_mode_16_64 0
		.amdhsa_float_denorm_mode_32 3
		.amdhsa_float_denorm_mode_16_64 3
		.amdhsa_fp16_overflow 0
		.amdhsa_memory_ordered 1
		.amdhsa_forward_progress 1
		.amdhsa_inst_pref_size 3
		.amdhsa_round_robin_scheduling 0
		.amdhsa_exception_fp_ieee_invalid_op 0
		.amdhsa_exception_fp_denorm_src 0
		.amdhsa_exception_fp_ieee_div_zero 0
		.amdhsa_exception_fp_ieee_overflow 0
		.amdhsa_exception_fp_ieee_underflow 0
		.amdhsa_exception_fp_ieee_inexact 0
		.amdhsa_exception_int_div_zero 0
	.end_amdhsa_kernel
	.section	.text._ZN9rocsparseL20coo2dense_aos_kernelILj512EiDF16_EEvT0_S1_ll21rocsparse_index_base_PKT1_PKS1_PS3_16rocsparse_order_,"axG",@progbits,_ZN9rocsparseL20coo2dense_aos_kernelILj512EiDF16_EEvT0_S1_ll21rocsparse_index_base_PKT1_PKS1_PS3_16rocsparse_order_,comdat
.Lfunc_end0:
	.size	_ZN9rocsparseL20coo2dense_aos_kernelILj512EiDF16_EEvT0_S1_ll21rocsparse_index_base_PKT1_PKS1_PS3_16rocsparse_order_, .Lfunc_end0-_ZN9rocsparseL20coo2dense_aos_kernelILj512EiDF16_EEvT0_S1_ll21rocsparse_index_base_PKT1_PKS1_PS3_16rocsparse_order_
                                        ; -- End function
	.set _ZN9rocsparseL20coo2dense_aos_kernelILj512EiDF16_EEvT0_S1_ll21rocsparse_index_base_PKT1_PKS1_PS3_16rocsparse_order_.num_vgpr, 11
	.set _ZN9rocsparseL20coo2dense_aos_kernelILj512EiDF16_EEvT0_S1_ll21rocsparse_index_base_PKT1_PKS1_PS3_16rocsparse_order_.num_agpr, 0
	.set _ZN9rocsparseL20coo2dense_aos_kernelILj512EiDF16_EEvT0_S1_ll21rocsparse_index_base_PKT1_PKS1_PS3_16rocsparse_order_.numbered_sgpr, 17
	.set _ZN9rocsparseL20coo2dense_aos_kernelILj512EiDF16_EEvT0_S1_ll21rocsparse_index_base_PKT1_PKS1_PS3_16rocsparse_order_.num_named_barrier, 0
	.set _ZN9rocsparseL20coo2dense_aos_kernelILj512EiDF16_EEvT0_S1_ll21rocsparse_index_base_PKT1_PKS1_PS3_16rocsparse_order_.private_seg_size, 0
	.set _ZN9rocsparseL20coo2dense_aos_kernelILj512EiDF16_EEvT0_S1_ll21rocsparse_index_base_PKT1_PKS1_PS3_16rocsparse_order_.uses_vcc, 1
	.set _ZN9rocsparseL20coo2dense_aos_kernelILj512EiDF16_EEvT0_S1_ll21rocsparse_index_base_PKT1_PKS1_PS3_16rocsparse_order_.uses_flat_scratch, 0
	.set _ZN9rocsparseL20coo2dense_aos_kernelILj512EiDF16_EEvT0_S1_ll21rocsparse_index_base_PKT1_PKS1_PS3_16rocsparse_order_.has_dyn_sized_stack, 0
	.set _ZN9rocsparseL20coo2dense_aos_kernelILj512EiDF16_EEvT0_S1_ll21rocsparse_index_base_PKT1_PKS1_PS3_16rocsparse_order_.has_recursion, 0
	.set _ZN9rocsparseL20coo2dense_aos_kernelILj512EiDF16_EEvT0_S1_ll21rocsparse_index_base_PKT1_PKS1_PS3_16rocsparse_order_.has_indirect_call, 0
	.section	.AMDGPU.csdata,"",@progbits
; Kernel info:
; codeLenInByte = 352
; TotalNumSgprs: 19
; NumVgprs: 11
; ScratchSize: 0
; MemoryBound: 0
; FloatMode: 240
; IeeeMode: 1
; LDSByteSize: 0 bytes/workgroup (compile time only)
; SGPRBlocks: 0
; VGPRBlocks: 0
; NumSGPRsForWavesPerEU: 19
; NumVGPRsForWavesPerEU: 11
; NamedBarCnt: 0
; Occupancy: 16
; WaveLimiterHint : 1
; COMPUTE_PGM_RSRC2:SCRATCH_EN: 0
; COMPUTE_PGM_RSRC2:USER_SGPR: 2
; COMPUTE_PGM_RSRC2:TRAP_HANDLER: 0
; COMPUTE_PGM_RSRC2:TGID_X_EN: 1
; COMPUTE_PGM_RSRC2:TGID_Y_EN: 0
; COMPUTE_PGM_RSRC2:TGID_Z_EN: 0
; COMPUTE_PGM_RSRC2:TIDIG_COMP_CNT: 0
	.section	.text._ZN9rocsparseL20coo2dense_aos_kernelILj512EifEEvT0_S1_ll21rocsparse_index_base_PKT1_PKS1_PS3_16rocsparse_order_,"axG",@progbits,_ZN9rocsparseL20coo2dense_aos_kernelILj512EifEEvT0_S1_ll21rocsparse_index_base_PKT1_PKS1_PS3_16rocsparse_order_,comdat
	.globl	_ZN9rocsparseL20coo2dense_aos_kernelILj512EifEEvT0_S1_ll21rocsparse_index_base_PKT1_PKS1_PS3_16rocsparse_order_ ; -- Begin function _ZN9rocsparseL20coo2dense_aos_kernelILj512EifEEvT0_S1_ll21rocsparse_index_base_PKT1_PKS1_PS3_16rocsparse_order_
	.p2align	8
	.type	_ZN9rocsparseL20coo2dense_aos_kernelILj512EifEEvT0_S1_ll21rocsparse_index_base_PKT1_PKS1_PS3_16rocsparse_order_,@function
_ZN9rocsparseL20coo2dense_aos_kernelILj512EifEEvT0_S1_ll21rocsparse_index_base_PKT1_PKS1_PS3_16rocsparse_order_: ; @_ZN9rocsparseL20coo2dense_aos_kernelILj512EifEEvT0_S1_ll21rocsparse_index_base_PKT1_PKS1_PS3_16rocsparse_order_
; %bb.0:
	s_load_b128 s[4:7], s[0:1], 0x8
	s_bfe_u32 s2, ttmp6, 0x4000c
	s_and_b32 s3, ttmp6, 15
	s_add_co_i32 s2, s2, 1
	s_getreg_b32 s8, hwreg(HW_REG_IB_STS2, 6, 4)
	s_mul_i32 s2, ttmp9, s2
	v_mov_b32_e32 v3, 0
	s_add_co_i32 s3, s3, s2
	s_cmp_eq_u32 s8, 0
	s_mov_b32 s2, 0
	s_cselect_b32 s15, ttmp9, s3
	s_mov_b32 s3, exec_lo
	v_lshl_or_b32 v2, s15, 9, v0
	s_wait_kmcnt 0x0
	s_delay_alu instid0(VALU_DEP_1)
	v_cmpx_gt_i64_e64 s[4:5], v[2:3]
	s_cbranch_execz .LBB1_3
; %bb.1:
	s_clause 0x3
	s_load_b32 s16, s[0:1], 0x40
	s_load_b96 s[12:14], s[0:1], 0x30
	s_load_b32 s3, s[0:1], 0x18
	s_load_b128 s[8:11], s[0:1], 0x20
	v_mov_b64_e32 v[4:5], v[2:3]
	s_wait_kmcnt 0x0
	s_lshl_b32 s1, s16, 9
	s_delay_alu instid0(SALU_CYCLE_1) | instskip(SKIP_2) | instid1(VALU_DEP_1)
	v_dual_lshlrev_b32 v1, 1, v0 :: v_dual_add_nc_u32 v0, s1, v2
	s_cmp_eq_u32 s14, 1
	s_cselect_b32 vcc_lo, -1, 0
	v_lshl_or_b32 v2, s15, 10, v1
	s_lshl_b32 s14, s16, 10
.LBB1_2:                                ; =>This Inner Loop Header: Depth=1
	s_delay_alu instid0(VALU_DEP_1)
	v_lshl_add_u64 v[6:7], v[2:3], 2, s[10:11]
	v_lshl_add_u64 v[4:5], v[4:5], 2, s[8:9]
	v_add_nc_u32_e32 v2, s14, v2
	global_load_b64 v[6:7], v[6:7], off
	global_load_b32 v10, v[4:5], off
	s_wait_loadcnt 0x1
	v_subrev_nc_u32_e32 v1, s3, v6
	s_wait_xcnt 0x1
	v_subrev_nc_u32_e32 v6, s3, v7
	s_wait_xcnt 0x0
	s_delay_alu instid0(VALU_DEP_1) | instskip(NEXT) | instid1(VALU_DEP_1)
	v_dual_cndmask_b32 v4, v1, v6, vcc_lo :: v_dual_cndmask_b32 v6, v6, v1, vcc_lo
	v_dual_mov_b32 v1, v3 :: v_dual_ashrrev_i32 v5, 31, v4
	s_delay_alu instid0(VALU_DEP_2) | instskip(NEXT) | instid1(VALU_DEP_2)
	v_ashrrev_i32_e32 v7, 31, v6
	v_cmp_le_u64_e64 s0, s[4:5], v[0:1]
	s_delay_alu instid0(VALU_DEP_3) | instskip(SKIP_1) | instid1(VALU_DEP_1)
	v_mul_u64_e32 v[4:5], s[6:7], v[4:5]
	s_or_b32 s2, s0, s2
	v_lshl_add_u64 v[8:9], v[4:5], 2, s[12:13]
	v_mov_b64_e32 v[4:5], v[0:1]
	v_add_nc_u32_e32 v0, s1, v0
	s_delay_alu instid0(VALU_DEP_3)
	v_lshl_add_u64 v[6:7], v[6:7], 2, v[8:9]
	s_wait_loadcnt 0x0
	global_store_b32 v[6:7], v10, off
	s_wait_xcnt 0x0
	s_and_not1_b32 exec_lo, exec_lo, s2
	s_cbranch_execnz .LBB1_2
.LBB1_3:
	s_endpgm
	.section	.rodata,"a",@progbits
	.p2align	6, 0x0
	.amdhsa_kernel _ZN9rocsparseL20coo2dense_aos_kernelILj512EifEEvT0_S1_ll21rocsparse_index_base_PKT1_PKS1_PS3_16rocsparse_order_
		.amdhsa_group_segment_fixed_size 0
		.amdhsa_private_segment_fixed_size 0
		.amdhsa_kernarg_size 320
		.amdhsa_user_sgpr_count 2
		.amdhsa_user_sgpr_dispatch_ptr 0
		.amdhsa_user_sgpr_queue_ptr 0
		.amdhsa_user_sgpr_kernarg_segment_ptr 1
		.amdhsa_user_sgpr_dispatch_id 0
		.amdhsa_user_sgpr_kernarg_preload_length 0
		.amdhsa_user_sgpr_kernarg_preload_offset 0
		.amdhsa_user_sgpr_private_segment_size 0
		.amdhsa_wavefront_size32 1
		.amdhsa_uses_dynamic_stack 0
		.amdhsa_enable_private_segment 0
		.amdhsa_system_sgpr_workgroup_id_x 1
		.amdhsa_system_sgpr_workgroup_id_y 0
		.amdhsa_system_sgpr_workgroup_id_z 0
		.amdhsa_system_sgpr_workgroup_info 0
		.amdhsa_system_vgpr_workitem_id 0
		.amdhsa_next_free_vgpr 11
		.amdhsa_next_free_sgpr 17
		.amdhsa_named_barrier_count 0
		.amdhsa_reserve_vcc 1
		.amdhsa_float_round_mode_32 0
		.amdhsa_float_round_mode_16_64 0
		.amdhsa_float_denorm_mode_32 3
		.amdhsa_float_denorm_mode_16_64 3
		.amdhsa_fp16_overflow 0
		.amdhsa_memory_ordered 1
		.amdhsa_forward_progress 1
		.amdhsa_inst_pref_size 3
		.amdhsa_round_robin_scheduling 0
		.amdhsa_exception_fp_ieee_invalid_op 0
		.amdhsa_exception_fp_denorm_src 0
		.amdhsa_exception_fp_ieee_div_zero 0
		.amdhsa_exception_fp_ieee_overflow 0
		.amdhsa_exception_fp_ieee_underflow 0
		.amdhsa_exception_fp_ieee_inexact 0
		.amdhsa_exception_int_div_zero 0
	.end_amdhsa_kernel
	.section	.text._ZN9rocsparseL20coo2dense_aos_kernelILj512EifEEvT0_S1_ll21rocsparse_index_base_PKT1_PKS1_PS3_16rocsparse_order_,"axG",@progbits,_ZN9rocsparseL20coo2dense_aos_kernelILj512EifEEvT0_S1_ll21rocsparse_index_base_PKT1_PKS1_PS3_16rocsparse_order_,comdat
.Lfunc_end1:
	.size	_ZN9rocsparseL20coo2dense_aos_kernelILj512EifEEvT0_S1_ll21rocsparse_index_base_PKT1_PKS1_PS3_16rocsparse_order_, .Lfunc_end1-_ZN9rocsparseL20coo2dense_aos_kernelILj512EifEEvT0_S1_ll21rocsparse_index_base_PKT1_PKS1_PS3_16rocsparse_order_
                                        ; -- End function
	.set _ZN9rocsparseL20coo2dense_aos_kernelILj512EifEEvT0_S1_ll21rocsparse_index_base_PKT1_PKS1_PS3_16rocsparse_order_.num_vgpr, 11
	.set _ZN9rocsparseL20coo2dense_aos_kernelILj512EifEEvT0_S1_ll21rocsparse_index_base_PKT1_PKS1_PS3_16rocsparse_order_.num_agpr, 0
	.set _ZN9rocsparseL20coo2dense_aos_kernelILj512EifEEvT0_S1_ll21rocsparse_index_base_PKT1_PKS1_PS3_16rocsparse_order_.numbered_sgpr, 17
	.set _ZN9rocsparseL20coo2dense_aos_kernelILj512EifEEvT0_S1_ll21rocsparse_index_base_PKT1_PKS1_PS3_16rocsparse_order_.num_named_barrier, 0
	.set _ZN9rocsparseL20coo2dense_aos_kernelILj512EifEEvT0_S1_ll21rocsparse_index_base_PKT1_PKS1_PS3_16rocsparse_order_.private_seg_size, 0
	.set _ZN9rocsparseL20coo2dense_aos_kernelILj512EifEEvT0_S1_ll21rocsparse_index_base_PKT1_PKS1_PS3_16rocsparse_order_.uses_vcc, 1
	.set _ZN9rocsparseL20coo2dense_aos_kernelILj512EifEEvT0_S1_ll21rocsparse_index_base_PKT1_PKS1_PS3_16rocsparse_order_.uses_flat_scratch, 0
	.set _ZN9rocsparseL20coo2dense_aos_kernelILj512EifEEvT0_S1_ll21rocsparse_index_base_PKT1_PKS1_PS3_16rocsparse_order_.has_dyn_sized_stack, 0
	.set _ZN9rocsparseL20coo2dense_aos_kernelILj512EifEEvT0_S1_ll21rocsparse_index_base_PKT1_PKS1_PS3_16rocsparse_order_.has_recursion, 0
	.set _ZN9rocsparseL20coo2dense_aos_kernelILj512EifEEvT0_S1_ll21rocsparse_index_base_PKT1_PKS1_PS3_16rocsparse_order_.has_indirect_call, 0
	.section	.AMDGPU.csdata,"",@progbits
; Kernel info:
; codeLenInByte = 352
; TotalNumSgprs: 19
; NumVgprs: 11
; ScratchSize: 0
; MemoryBound: 0
; FloatMode: 240
; IeeeMode: 1
; LDSByteSize: 0 bytes/workgroup (compile time only)
; SGPRBlocks: 0
; VGPRBlocks: 0
; NumSGPRsForWavesPerEU: 19
; NumVGPRsForWavesPerEU: 11
; NamedBarCnt: 0
; Occupancy: 16
; WaveLimiterHint : 1
; COMPUTE_PGM_RSRC2:SCRATCH_EN: 0
; COMPUTE_PGM_RSRC2:USER_SGPR: 2
; COMPUTE_PGM_RSRC2:TRAP_HANDLER: 0
; COMPUTE_PGM_RSRC2:TGID_X_EN: 1
; COMPUTE_PGM_RSRC2:TGID_Y_EN: 0
; COMPUTE_PGM_RSRC2:TGID_Z_EN: 0
; COMPUTE_PGM_RSRC2:TIDIG_COMP_CNT: 0
	.section	.text._ZN9rocsparseL20coo2dense_aos_kernelILj512EidEEvT0_S1_ll21rocsparse_index_base_PKT1_PKS1_PS3_16rocsparse_order_,"axG",@progbits,_ZN9rocsparseL20coo2dense_aos_kernelILj512EidEEvT0_S1_ll21rocsparse_index_base_PKT1_PKS1_PS3_16rocsparse_order_,comdat
	.globl	_ZN9rocsparseL20coo2dense_aos_kernelILj512EidEEvT0_S1_ll21rocsparse_index_base_PKT1_PKS1_PS3_16rocsparse_order_ ; -- Begin function _ZN9rocsparseL20coo2dense_aos_kernelILj512EidEEvT0_S1_ll21rocsparse_index_base_PKT1_PKS1_PS3_16rocsparse_order_
	.p2align	8
	.type	_ZN9rocsparseL20coo2dense_aos_kernelILj512EidEEvT0_S1_ll21rocsparse_index_base_PKT1_PKS1_PS3_16rocsparse_order_,@function
_ZN9rocsparseL20coo2dense_aos_kernelILj512EidEEvT0_S1_ll21rocsparse_index_base_PKT1_PKS1_PS3_16rocsparse_order_: ; @_ZN9rocsparseL20coo2dense_aos_kernelILj512EidEEvT0_S1_ll21rocsparse_index_base_PKT1_PKS1_PS3_16rocsparse_order_
; %bb.0:
	s_load_b128 s[4:7], s[0:1], 0x8
	s_bfe_u32 s2, ttmp6, 0x4000c
	s_and_b32 s3, ttmp6, 15
	s_add_co_i32 s2, s2, 1
	s_getreg_b32 s8, hwreg(HW_REG_IB_STS2, 6, 4)
	s_mul_i32 s2, ttmp9, s2
	v_mov_b32_e32 v3, 0
	s_add_co_i32 s3, s3, s2
	s_cmp_eq_u32 s8, 0
	s_mov_b32 s2, 0
	s_cselect_b32 s15, ttmp9, s3
	s_mov_b32 s3, exec_lo
	v_lshl_or_b32 v2, s15, 9, v0
	s_wait_kmcnt 0x0
	s_delay_alu instid0(VALU_DEP_1)
	v_cmpx_gt_i64_e64 s[4:5], v[2:3]
	s_cbranch_execz .LBB2_3
; %bb.1:
	s_clause 0x3
	s_load_b32 s16, s[0:1], 0x40
	s_load_b96 s[12:14], s[0:1], 0x30
	s_load_b32 s3, s[0:1], 0x18
	s_load_b128 s[8:11], s[0:1], 0x20
	v_mov_b64_e32 v[4:5], v[2:3]
	s_wait_kmcnt 0x0
	s_lshl_b32 s1, s16, 9
	s_delay_alu instid0(SALU_CYCLE_1) | instskip(SKIP_2) | instid1(VALU_DEP_1)
	v_dual_lshlrev_b32 v1, 1, v0 :: v_dual_add_nc_u32 v0, s1, v2
	s_cmp_eq_u32 s14, 1
	s_cselect_b32 vcc_lo, -1, 0
	v_lshl_or_b32 v2, s15, 10, v1
	s_lshl_b32 s14, s16, 10
.LBB2_2:                                ; =>This Inner Loop Header: Depth=1
	s_delay_alu instid0(VALU_DEP_1)
	v_lshl_add_u64 v[6:7], v[2:3], 2, s[10:11]
	v_lshl_add_u64 v[4:5], v[4:5], 3, s[8:9]
	v_add_nc_u32_e32 v2, s14, v2
	global_load_b64 v[6:7], v[6:7], off
	global_load_b64 v[8:9], v[4:5], off
	s_wait_loadcnt 0x1
	v_subrev_nc_u32_e32 v1, s3, v6
	s_wait_xcnt 0x1
	v_subrev_nc_u32_e32 v6, s3, v7
	s_wait_xcnt 0x0
	s_delay_alu instid0(VALU_DEP_1) | instskip(NEXT) | instid1(VALU_DEP_1)
	v_dual_cndmask_b32 v4, v1, v6, vcc_lo :: v_dual_cndmask_b32 v6, v6, v1, vcc_lo
	v_dual_mov_b32 v1, v3 :: v_dual_ashrrev_i32 v5, 31, v4
	s_delay_alu instid0(VALU_DEP_2) | instskip(NEXT) | instid1(VALU_DEP_2)
	v_ashrrev_i32_e32 v7, 31, v6
	v_cmp_le_u64_e64 s0, s[4:5], v[0:1]
	s_delay_alu instid0(VALU_DEP_3) | instskip(SKIP_1) | instid1(VALU_DEP_1)
	v_mul_u64_e32 v[4:5], s[6:7], v[4:5]
	s_or_b32 s2, s0, s2
	v_lshl_add_u64 v[10:11], v[4:5], 3, s[12:13]
	v_mov_b64_e32 v[4:5], v[0:1]
	v_add_nc_u32_e32 v0, s1, v0
	s_delay_alu instid0(VALU_DEP_3)
	v_lshl_add_u64 v[6:7], v[6:7], 3, v[10:11]
	s_wait_loadcnt 0x0
	global_store_b64 v[6:7], v[8:9], off
	s_wait_xcnt 0x0
	s_and_not1_b32 exec_lo, exec_lo, s2
	s_cbranch_execnz .LBB2_2
.LBB2_3:
	s_endpgm
	.section	.rodata,"a",@progbits
	.p2align	6, 0x0
	.amdhsa_kernel _ZN9rocsparseL20coo2dense_aos_kernelILj512EidEEvT0_S1_ll21rocsparse_index_base_PKT1_PKS1_PS3_16rocsparse_order_
		.amdhsa_group_segment_fixed_size 0
		.amdhsa_private_segment_fixed_size 0
		.amdhsa_kernarg_size 320
		.amdhsa_user_sgpr_count 2
		.amdhsa_user_sgpr_dispatch_ptr 0
		.amdhsa_user_sgpr_queue_ptr 0
		.amdhsa_user_sgpr_kernarg_segment_ptr 1
		.amdhsa_user_sgpr_dispatch_id 0
		.amdhsa_user_sgpr_kernarg_preload_length 0
		.amdhsa_user_sgpr_kernarg_preload_offset 0
		.amdhsa_user_sgpr_private_segment_size 0
		.amdhsa_wavefront_size32 1
		.amdhsa_uses_dynamic_stack 0
		.amdhsa_enable_private_segment 0
		.amdhsa_system_sgpr_workgroup_id_x 1
		.amdhsa_system_sgpr_workgroup_id_y 0
		.amdhsa_system_sgpr_workgroup_id_z 0
		.amdhsa_system_sgpr_workgroup_info 0
		.amdhsa_system_vgpr_workitem_id 0
		.amdhsa_next_free_vgpr 12
		.amdhsa_next_free_sgpr 17
		.amdhsa_named_barrier_count 0
		.amdhsa_reserve_vcc 1
		.amdhsa_float_round_mode_32 0
		.amdhsa_float_round_mode_16_64 0
		.amdhsa_float_denorm_mode_32 3
		.amdhsa_float_denorm_mode_16_64 3
		.amdhsa_fp16_overflow 0
		.amdhsa_memory_ordered 1
		.amdhsa_forward_progress 1
		.amdhsa_inst_pref_size 3
		.amdhsa_round_robin_scheduling 0
		.amdhsa_exception_fp_ieee_invalid_op 0
		.amdhsa_exception_fp_denorm_src 0
		.amdhsa_exception_fp_ieee_div_zero 0
		.amdhsa_exception_fp_ieee_overflow 0
		.amdhsa_exception_fp_ieee_underflow 0
		.amdhsa_exception_fp_ieee_inexact 0
		.amdhsa_exception_int_div_zero 0
	.end_amdhsa_kernel
	.section	.text._ZN9rocsparseL20coo2dense_aos_kernelILj512EidEEvT0_S1_ll21rocsparse_index_base_PKT1_PKS1_PS3_16rocsparse_order_,"axG",@progbits,_ZN9rocsparseL20coo2dense_aos_kernelILj512EidEEvT0_S1_ll21rocsparse_index_base_PKT1_PKS1_PS3_16rocsparse_order_,comdat
.Lfunc_end2:
	.size	_ZN9rocsparseL20coo2dense_aos_kernelILj512EidEEvT0_S1_ll21rocsparse_index_base_PKT1_PKS1_PS3_16rocsparse_order_, .Lfunc_end2-_ZN9rocsparseL20coo2dense_aos_kernelILj512EidEEvT0_S1_ll21rocsparse_index_base_PKT1_PKS1_PS3_16rocsparse_order_
                                        ; -- End function
	.set _ZN9rocsparseL20coo2dense_aos_kernelILj512EidEEvT0_S1_ll21rocsparse_index_base_PKT1_PKS1_PS3_16rocsparse_order_.num_vgpr, 12
	.set _ZN9rocsparseL20coo2dense_aos_kernelILj512EidEEvT0_S1_ll21rocsparse_index_base_PKT1_PKS1_PS3_16rocsparse_order_.num_agpr, 0
	.set _ZN9rocsparseL20coo2dense_aos_kernelILj512EidEEvT0_S1_ll21rocsparse_index_base_PKT1_PKS1_PS3_16rocsparse_order_.numbered_sgpr, 17
	.set _ZN9rocsparseL20coo2dense_aos_kernelILj512EidEEvT0_S1_ll21rocsparse_index_base_PKT1_PKS1_PS3_16rocsparse_order_.num_named_barrier, 0
	.set _ZN9rocsparseL20coo2dense_aos_kernelILj512EidEEvT0_S1_ll21rocsparse_index_base_PKT1_PKS1_PS3_16rocsparse_order_.private_seg_size, 0
	.set _ZN9rocsparseL20coo2dense_aos_kernelILj512EidEEvT0_S1_ll21rocsparse_index_base_PKT1_PKS1_PS3_16rocsparse_order_.uses_vcc, 1
	.set _ZN9rocsparseL20coo2dense_aos_kernelILj512EidEEvT0_S1_ll21rocsparse_index_base_PKT1_PKS1_PS3_16rocsparse_order_.uses_flat_scratch, 0
	.set _ZN9rocsparseL20coo2dense_aos_kernelILj512EidEEvT0_S1_ll21rocsparse_index_base_PKT1_PKS1_PS3_16rocsparse_order_.has_dyn_sized_stack, 0
	.set _ZN9rocsparseL20coo2dense_aos_kernelILj512EidEEvT0_S1_ll21rocsparse_index_base_PKT1_PKS1_PS3_16rocsparse_order_.has_recursion, 0
	.set _ZN9rocsparseL20coo2dense_aos_kernelILj512EidEEvT0_S1_ll21rocsparse_index_base_PKT1_PKS1_PS3_16rocsparse_order_.has_indirect_call, 0
	.section	.AMDGPU.csdata,"",@progbits
; Kernel info:
; codeLenInByte = 352
; TotalNumSgprs: 19
; NumVgprs: 12
; ScratchSize: 0
; MemoryBound: 0
; FloatMode: 240
; IeeeMode: 1
; LDSByteSize: 0 bytes/workgroup (compile time only)
; SGPRBlocks: 0
; VGPRBlocks: 0
; NumSGPRsForWavesPerEU: 19
; NumVGPRsForWavesPerEU: 12
; NamedBarCnt: 0
; Occupancy: 16
; WaveLimiterHint : 1
; COMPUTE_PGM_RSRC2:SCRATCH_EN: 0
; COMPUTE_PGM_RSRC2:USER_SGPR: 2
; COMPUTE_PGM_RSRC2:TRAP_HANDLER: 0
; COMPUTE_PGM_RSRC2:TGID_X_EN: 1
; COMPUTE_PGM_RSRC2:TGID_Y_EN: 0
; COMPUTE_PGM_RSRC2:TGID_Z_EN: 0
; COMPUTE_PGM_RSRC2:TIDIG_COMP_CNT: 0
	.section	.text._ZN9rocsparseL20coo2dense_aos_kernelILj512Ei21rocsparse_complex_numIfEEEvT0_S3_ll21rocsparse_index_base_PKT1_PKS3_PS5_16rocsparse_order_,"axG",@progbits,_ZN9rocsparseL20coo2dense_aos_kernelILj512Ei21rocsparse_complex_numIfEEEvT0_S3_ll21rocsparse_index_base_PKT1_PKS3_PS5_16rocsparse_order_,comdat
	.globl	_ZN9rocsparseL20coo2dense_aos_kernelILj512Ei21rocsparse_complex_numIfEEEvT0_S3_ll21rocsparse_index_base_PKT1_PKS3_PS5_16rocsparse_order_ ; -- Begin function _ZN9rocsparseL20coo2dense_aos_kernelILj512Ei21rocsparse_complex_numIfEEEvT0_S3_ll21rocsparse_index_base_PKT1_PKS3_PS5_16rocsparse_order_
	.p2align	8
	.type	_ZN9rocsparseL20coo2dense_aos_kernelILj512Ei21rocsparse_complex_numIfEEEvT0_S3_ll21rocsparse_index_base_PKT1_PKS3_PS5_16rocsparse_order_,@function
_ZN9rocsparseL20coo2dense_aos_kernelILj512Ei21rocsparse_complex_numIfEEEvT0_S3_ll21rocsparse_index_base_PKT1_PKS3_PS5_16rocsparse_order_: ; @_ZN9rocsparseL20coo2dense_aos_kernelILj512Ei21rocsparse_complex_numIfEEEvT0_S3_ll21rocsparse_index_base_PKT1_PKS3_PS5_16rocsparse_order_
; %bb.0:
	s_load_b128 s[4:7], s[0:1], 0x8
	s_bfe_u32 s2, ttmp6, 0x4000c
	s_and_b32 s3, ttmp6, 15
	s_add_co_i32 s2, s2, 1
	s_getreg_b32 s8, hwreg(HW_REG_IB_STS2, 6, 4)
	s_mul_i32 s2, ttmp9, s2
	v_mov_b32_e32 v3, 0
	s_add_co_i32 s3, s3, s2
	s_cmp_eq_u32 s8, 0
	s_mov_b32 s2, 0
	s_cselect_b32 s15, ttmp9, s3
	s_mov_b32 s3, exec_lo
	v_lshl_or_b32 v2, s15, 9, v0
	s_wait_kmcnt 0x0
	s_delay_alu instid0(VALU_DEP_1)
	v_cmpx_gt_i64_e64 s[4:5], v[2:3]
	s_cbranch_execz .LBB3_3
; %bb.1:
	s_clause 0x3
	s_load_b32 s16, s[0:1], 0x40
	s_load_b96 s[12:14], s[0:1], 0x30
	s_load_b32 s3, s[0:1], 0x18
	s_load_b128 s[8:11], s[0:1], 0x20
	v_mov_b64_e32 v[4:5], v[2:3]
	s_wait_kmcnt 0x0
	s_lshl_b32 s1, s16, 9
	s_delay_alu instid0(SALU_CYCLE_1) | instskip(SKIP_2) | instid1(VALU_DEP_1)
	v_dual_lshlrev_b32 v1, 1, v0 :: v_dual_add_nc_u32 v0, s1, v2
	s_cmp_eq_u32 s14, 1
	s_cselect_b32 vcc_lo, -1, 0
	v_lshl_or_b32 v2, s15, 10, v1
	s_lshl_b32 s14, s16, 10
.LBB3_2:                                ; =>This Inner Loop Header: Depth=1
	s_delay_alu instid0(VALU_DEP_1)
	v_lshl_add_u64 v[6:7], v[2:3], 2, s[10:11]
	v_lshl_add_u64 v[4:5], v[4:5], 3, s[8:9]
	v_add_nc_u32_e32 v2, s14, v2
	global_load_b64 v[6:7], v[6:7], off
	global_load_b64 v[8:9], v[4:5], off
	s_wait_loadcnt 0x1
	v_subrev_nc_u32_e32 v1, s3, v6
	s_wait_xcnt 0x1
	v_subrev_nc_u32_e32 v6, s3, v7
	s_wait_xcnt 0x0
	s_delay_alu instid0(VALU_DEP_1) | instskip(NEXT) | instid1(VALU_DEP_1)
	v_dual_cndmask_b32 v4, v1, v6, vcc_lo :: v_dual_cndmask_b32 v6, v6, v1, vcc_lo
	v_dual_mov_b32 v1, v3 :: v_dual_ashrrev_i32 v5, 31, v4
	s_delay_alu instid0(VALU_DEP_2) | instskip(NEXT) | instid1(VALU_DEP_2)
	v_ashrrev_i32_e32 v7, 31, v6
	v_cmp_le_u64_e64 s0, s[4:5], v[0:1]
	s_delay_alu instid0(VALU_DEP_3) | instskip(SKIP_1) | instid1(VALU_DEP_1)
	v_mul_u64_e32 v[4:5], s[6:7], v[4:5]
	s_or_b32 s2, s0, s2
	v_lshl_add_u64 v[10:11], v[4:5], 3, s[12:13]
	v_mov_b64_e32 v[4:5], v[0:1]
	v_add_nc_u32_e32 v0, s1, v0
	s_delay_alu instid0(VALU_DEP_3)
	v_lshl_add_u64 v[6:7], v[6:7], 3, v[10:11]
	s_wait_loadcnt 0x0
	global_store_b64 v[6:7], v[8:9], off
	s_wait_xcnt 0x0
	s_and_not1_b32 exec_lo, exec_lo, s2
	s_cbranch_execnz .LBB3_2
.LBB3_3:
	s_endpgm
	.section	.rodata,"a",@progbits
	.p2align	6, 0x0
	.amdhsa_kernel _ZN9rocsparseL20coo2dense_aos_kernelILj512Ei21rocsparse_complex_numIfEEEvT0_S3_ll21rocsparse_index_base_PKT1_PKS3_PS5_16rocsparse_order_
		.amdhsa_group_segment_fixed_size 0
		.amdhsa_private_segment_fixed_size 0
		.amdhsa_kernarg_size 320
		.amdhsa_user_sgpr_count 2
		.amdhsa_user_sgpr_dispatch_ptr 0
		.amdhsa_user_sgpr_queue_ptr 0
		.amdhsa_user_sgpr_kernarg_segment_ptr 1
		.amdhsa_user_sgpr_dispatch_id 0
		.amdhsa_user_sgpr_kernarg_preload_length 0
		.amdhsa_user_sgpr_kernarg_preload_offset 0
		.amdhsa_user_sgpr_private_segment_size 0
		.amdhsa_wavefront_size32 1
		.amdhsa_uses_dynamic_stack 0
		.amdhsa_enable_private_segment 0
		.amdhsa_system_sgpr_workgroup_id_x 1
		.amdhsa_system_sgpr_workgroup_id_y 0
		.amdhsa_system_sgpr_workgroup_id_z 0
		.amdhsa_system_sgpr_workgroup_info 0
		.amdhsa_system_vgpr_workitem_id 0
		.amdhsa_next_free_vgpr 12
		.amdhsa_next_free_sgpr 17
		.amdhsa_named_barrier_count 0
		.amdhsa_reserve_vcc 1
		.amdhsa_float_round_mode_32 0
		.amdhsa_float_round_mode_16_64 0
		.amdhsa_float_denorm_mode_32 3
		.amdhsa_float_denorm_mode_16_64 3
		.amdhsa_fp16_overflow 0
		.amdhsa_memory_ordered 1
		.amdhsa_forward_progress 1
		.amdhsa_inst_pref_size 3
		.amdhsa_round_robin_scheduling 0
		.amdhsa_exception_fp_ieee_invalid_op 0
		.amdhsa_exception_fp_denorm_src 0
		.amdhsa_exception_fp_ieee_div_zero 0
		.amdhsa_exception_fp_ieee_overflow 0
		.amdhsa_exception_fp_ieee_underflow 0
		.amdhsa_exception_fp_ieee_inexact 0
		.amdhsa_exception_int_div_zero 0
	.end_amdhsa_kernel
	.section	.text._ZN9rocsparseL20coo2dense_aos_kernelILj512Ei21rocsparse_complex_numIfEEEvT0_S3_ll21rocsparse_index_base_PKT1_PKS3_PS5_16rocsparse_order_,"axG",@progbits,_ZN9rocsparseL20coo2dense_aos_kernelILj512Ei21rocsparse_complex_numIfEEEvT0_S3_ll21rocsparse_index_base_PKT1_PKS3_PS5_16rocsparse_order_,comdat
.Lfunc_end3:
	.size	_ZN9rocsparseL20coo2dense_aos_kernelILj512Ei21rocsparse_complex_numIfEEEvT0_S3_ll21rocsparse_index_base_PKT1_PKS3_PS5_16rocsparse_order_, .Lfunc_end3-_ZN9rocsparseL20coo2dense_aos_kernelILj512Ei21rocsparse_complex_numIfEEEvT0_S3_ll21rocsparse_index_base_PKT1_PKS3_PS5_16rocsparse_order_
                                        ; -- End function
	.set _ZN9rocsparseL20coo2dense_aos_kernelILj512Ei21rocsparse_complex_numIfEEEvT0_S3_ll21rocsparse_index_base_PKT1_PKS3_PS5_16rocsparse_order_.num_vgpr, 12
	.set _ZN9rocsparseL20coo2dense_aos_kernelILj512Ei21rocsparse_complex_numIfEEEvT0_S3_ll21rocsparse_index_base_PKT1_PKS3_PS5_16rocsparse_order_.num_agpr, 0
	.set _ZN9rocsparseL20coo2dense_aos_kernelILj512Ei21rocsparse_complex_numIfEEEvT0_S3_ll21rocsparse_index_base_PKT1_PKS3_PS5_16rocsparse_order_.numbered_sgpr, 17
	.set _ZN9rocsparseL20coo2dense_aos_kernelILj512Ei21rocsparse_complex_numIfEEEvT0_S3_ll21rocsparse_index_base_PKT1_PKS3_PS5_16rocsparse_order_.num_named_barrier, 0
	.set _ZN9rocsparseL20coo2dense_aos_kernelILj512Ei21rocsparse_complex_numIfEEEvT0_S3_ll21rocsparse_index_base_PKT1_PKS3_PS5_16rocsparse_order_.private_seg_size, 0
	.set _ZN9rocsparseL20coo2dense_aos_kernelILj512Ei21rocsparse_complex_numIfEEEvT0_S3_ll21rocsparse_index_base_PKT1_PKS3_PS5_16rocsparse_order_.uses_vcc, 1
	.set _ZN9rocsparseL20coo2dense_aos_kernelILj512Ei21rocsparse_complex_numIfEEEvT0_S3_ll21rocsparse_index_base_PKT1_PKS3_PS5_16rocsparse_order_.uses_flat_scratch, 0
	.set _ZN9rocsparseL20coo2dense_aos_kernelILj512Ei21rocsparse_complex_numIfEEEvT0_S3_ll21rocsparse_index_base_PKT1_PKS3_PS5_16rocsparse_order_.has_dyn_sized_stack, 0
	.set _ZN9rocsparseL20coo2dense_aos_kernelILj512Ei21rocsparse_complex_numIfEEEvT0_S3_ll21rocsparse_index_base_PKT1_PKS3_PS5_16rocsparse_order_.has_recursion, 0
	.set _ZN9rocsparseL20coo2dense_aos_kernelILj512Ei21rocsparse_complex_numIfEEEvT0_S3_ll21rocsparse_index_base_PKT1_PKS3_PS5_16rocsparse_order_.has_indirect_call, 0
	.section	.AMDGPU.csdata,"",@progbits
; Kernel info:
; codeLenInByte = 352
; TotalNumSgprs: 19
; NumVgprs: 12
; ScratchSize: 0
; MemoryBound: 0
; FloatMode: 240
; IeeeMode: 1
; LDSByteSize: 0 bytes/workgroup (compile time only)
; SGPRBlocks: 0
; VGPRBlocks: 0
; NumSGPRsForWavesPerEU: 19
; NumVGPRsForWavesPerEU: 12
; NamedBarCnt: 0
; Occupancy: 16
; WaveLimiterHint : 1
; COMPUTE_PGM_RSRC2:SCRATCH_EN: 0
; COMPUTE_PGM_RSRC2:USER_SGPR: 2
; COMPUTE_PGM_RSRC2:TRAP_HANDLER: 0
; COMPUTE_PGM_RSRC2:TGID_X_EN: 1
; COMPUTE_PGM_RSRC2:TGID_Y_EN: 0
; COMPUTE_PGM_RSRC2:TGID_Z_EN: 0
; COMPUTE_PGM_RSRC2:TIDIG_COMP_CNT: 0
	.section	.text._ZN9rocsparseL20coo2dense_aos_kernelILj512Ei21rocsparse_complex_numIdEEEvT0_S3_ll21rocsparse_index_base_PKT1_PKS3_PS5_16rocsparse_order_,"axG",@progbits,_ZN9rocsparseL20coo2dense_aos_kernelILj512Ei21rocsparse_complex_numIdEEEvT0_S3_ll21rocsparse_index_base_PKT1_PKS3_PS5_16rocsparse_order_,comdat
	.globl	_ZN9rocsparseL20coo2dense_aos_kernelILj512Ei21rocsparse_complex_numIdEEEvT0_S3_ll21rocsparse_index_base_PKT1_PKS3_PS5_16rocsparse_order_ ; -- Begin function _ZN9rocsparseL20coo2dense_aos_kernelILj512Ei21rocsparse_complex_numIdEEEvT0_S3_ll21rocsparse_index_base_PKT1_PKS3_PS5_16rocsparse_order_
	.p2align	8
	.type	_ZN9rocsparseL20coo2dense_aos_kernelILj512Ei21rocsparse_complex_numIdEEEvT0_S3_ll21rocsparse_index_base_PKT1_PKS3_PS5_16rocsparse_order_,@function
_ZN9rocsparseL20coo2dense_aos_kernelILj512Ei21rocsparse_complex_numIdEEEvT0_S3_ll21rocsparse_index_base_PKT1_PKS3_PS5_16rocsparse_order_: ; @_ZN9rocsparseL20coo2dense_aos_kernelILj512Ei21rocsparse_complex_numIdEEEvT0_S3_ll21rocsparse_index_base_PKT1_PKS3_PS5_16rocsparse_order_
; %bb.0:
	s_load_b128 s[4:7], s[0:1], 0x8
	s_bfe_u32 s2, ttmp6, 0x4000c
	s_and_b32 s3, ttmp6, 15
	s_add_co_i32 s2, s2, 1
	s_getreg_b32 s8, hwreg(HW_REG_IB_STS2, 6, 4)
	s_mul_i32 s2, ttmp9, s2
	v_mov_b32_e32 v3, 0
	s_add_co_i32 s3, s3, s2
	s_cmp_eq_u32 s8, 0
	s_mov_b32 s2, 0
	s_cselect_b32 s15, ttmp9, s3
	s_mov_b32 s3, exec_lo
	v_lshl_or_b32 v2, s15, 9, v0
	s_wait_kmcnt 0x0
	s_delay_alu instid0(VALU_DEP_1)
	v_cmpx_gt_i64_e64 s[4:5], v[2:3]
	s_cbranch_execz .LBB4_3
; %bb.1:
	s_clause 0x3
	s_load_b32 s16, s[0:1], 0x40
	s_load_b96 s[12:14], s[0:1], 0x30
	s_load_b32 s3, s[0:1], 0x18
	s_load_b128 s[8:11], s[0:1], 0x20
	v_mov_b64_e32 v[4:5], v[2:3]
	s_wait_kmcnt 0x0
	s_lshl_b32 s1, s16, 9
	s_delay_alu instid0(SALU_CYCLE_1) | instskip(SKIP_2) | instid1(VALU_DEP_1)
	v_dual_lshlrev_b32 v1, 1, v0 :: v_dual_add_nc_u32 v0, s1, v2
	s_cmp_eq_u32 s14, 1
	s_cselect_b32 vcc_lo, -1, 0
	v_lshl_or_b32 v2, s15, 10, v1
	s_lshl_b32 s14, s16, 10
.LBB4_2:                                ; =>This Inner Loop Header: Depth=1
	s_delay_alu instid0(VALU_DEP_1)
	v_lshl_add_u64 v[6:7], v[2:3], 2, s[10:11]
	v_lshl_add_u64 v[4:5], v[4:5], 4, s[8:9]
	v_add_nc_u32_e32 v2, s14, v2
	global_load_b64 v[10:11], v[6:7], off
	global_load_b128 v[6:9], v[4:5], off
	s_wait_loadcnt 0x1
	v_subrev_nc_u32_e32 v1, s3, v10
	v_subrev_nc_u32_e32 v10, s3, v11
	s_wait_xcnt 0x0
	s_delay_alu instid0(VALU_DEP_1) | instskip(NEXT) | instid1(VALU_DEP_1)
	v_dual_cndmask_b32 v4, v1, v10, vcc_lo :: v_dual_cndmask_b32 v10, v10, v1, vcc_lo
	v_dual_mov_b32 v1, v3 :: v_dual_ashrrev_i32 v5, 31, v4
	s_delay_alu instid0(VALU_DEP_2) | instskip(NEXT) | instid1(VALU_DEP_2)
	v_ashrrev_i32_e32 v11, 31, v10
	v_cmp_le_u64_e64 s0, s[4:5], v[0:1]
	s_delay_alu instid0(VALU_DEP_3) | instskip(SKIP_1) | instid1(VALU_DEP_1)
	v_mul_u64_e32 v[4:5], s[6:7], v[4:5]
	s_or_b32 s2, s0, s2
	v_lshl_add_u64 v[12:13], v[4:5], 4, s[12:13]
	v_mov_b64_e32 v[4:5], v[0:1]
	v_add_nc_u32_e32 v0, s1, v0
	s_delay_alu instid0(VALU_DEP_3)
	v_lshl_add_u64 v[10:11], v[10:11], 4, v[12:13]
	s_wait_loadcnt 0x0
	global_store_b128 v[10:11], v[6:9], off
	s_wait_xcnt 0x0
	s_and_not1_b32 exec_lo, exec_lo, s2
	s_cbranch_execnz .LBB4_2
.LBB4_3:
	s_endpgm
	.section	.rodata,"a",@progbits
	.p2align	6, 0x0
	.amdhsa_kernel _ZN9rocsparseL20coo2dense_aos_kernelILj512Ei21rocsparse_complex_numIdEEEvT0_S3_ll21rocsparse_index_base_PKT1_PKS3_PS5_16rocsparse_order_
		.amdhsa_group_segment_fixed_size 0
		.amdhsa_private_segment_fixed_size 0
		.amdhsa_kernarg_size 320
		.amdhsa_user_sgpr_count 2
		.amdhsa_user_sgpr_dispatch_ptr 0
		.amdhsa_user_sgpr_queue_ptr 0
		.amdhsa_user_sgpr_kernarg_segment_ptr 1
		.amdhsa_user_sgpr_dispatch_id 0
		.amdhsa_user_sgpr_kernarg_preload_length 0
		.amdhsa_user_sgpr_kernarg_preload_offset 0
		.amdhsa_user_sgpr_private_segment_size 0
		.amdhsa_wavefront_size32 1
		.amdhsa_uses_dynamic_stack 0
		.amdhsa_enable_private_segment 0
		.amdhsa_system_sgpr_workgroup_id_x 1
		.amdhsa_system_sgpr_workgroup_id_y 0
		.amdhsa_system_sgpr_workgroup_id_z 0
		.amdhsa_system_sgpr_workgroup_info 0
		.amdhsa_system_vgpr_workitem_id 0
		.amdhsa_next_free_vgpr 14
		.amdhsa_next_free_sgpr 17
		.amdhsa_named_barrier_count 0
		.amdhsa_reserve_vcc 1
		.amdhsa_float_round_mode_32 0
		.amdhsa_float_round_mode_16_64 0
		.amdhsa_float_denorm_mode_32 3
		.amdhsa_float_denorm_mode_16_64 3
		.amdhsa_fp16_overflow 0
		.amdhsa_memory_ordered 1
		.amdhsa_forward_progress 1
		.amdhsa_inst_pref_size 3
		.amdhsa_round_robin_scheduling 0
		.amdhsa_exception_fp_ieee_invalid_op 0
		.amdhsa_exception_fp_denorm_src 0
		.amdhsa_exception_fp_ieee_div_zero 0
		.amdhsa_exception_fp_ieee_overflow 0
		.amdhsa_exception_fp_ieee_underflow 0
		.amdhsa_exception_fp_ieee_inexact 0
		.amdhsa_exception_int_div_zero 0
	.end_amdhsa_kernel
	.section	.text._ZN9rocsparseL20coo2dense_aos_kernelILj512Ei21rocsparse_complex_numIdEEEvT0_S3_ll21rocsparse_index_base_PKT1_PKS3_PS5_16rocsparse_order_,"axG",@progbits,_ZN9rocsparseL20coo2dense_aos_kernelILj512Ei21rocsparse_complex_numIdEEEvT0_S3_ll21rocsparse_index_base_PKT1_PKS3_PS5_16rocsparse_order_,comdat
.Lfunc_end4:
	.size	_ZN9rocsparseL20coo2dense_aos_kernelILj512Ei21rocsparse_complex_numIdEEEvT0_S3_ll21rocsparse_index_base_PKT1_PKS3_PS5_16rocsparse_order_, .Lfunc_end4-_ZN9rocsparseL20coo2dense_aos_kernelILj512Ei21rocsparse_complex_numIdEEEvT0_S3_ll21rocsparse_index_base_PKT1_PKS3_PS5_16rocsparse_order_
                                        ; -- End function
	.set _ZN9rocsparseL20coo2dense_aos_kernelILj512Ei21rocsparse_complex_numIdEEEvT0_S3_ll21rocsparse_index_base_PKT1_PKS3_PS5_16rocsparse_order_.num_vgpr, 14
	.set _ZN9rocsparseL20coo2dense_aos_kernelILj512Ei21rocsparse_complex_numIdEEEvT0_S3_ll21rocsparse_index_base_PKT1_PKS3_PS5_16rocsparse_order_.num_agpr, 0
	.set _ZN9rocsparseL20coo2dense_aos_kernelILj512Ei21rocsparse_complex_numIdEEEvT0_S3_ll21rocsparse_index_base_PKT1_PKS3_PS5_16rocsparse_order_.numbered_sgpr, 17
	.set _ZN9rocsparseL20coo2dense_aos_kernelILj512Ei21rocsparse_complex_numIdEEEvT0_S3_ll21rocsparse_index_base_PKT1_PKS3_PS5_16rocsparse_order_.num_named_barrier, 0
	.set _ZN9rocsparseL20coo2dense_aos_kernelILj512Ei21rocsparse_complex_numIdEEEvT0_S3_ll21rocsparse_index_base_PKT1_PKS3_PS5_16rocsparse_order_.private_seg_size, 0
	.set _ZN9rocsparseL20coo2dense_aos_kernelILj512Ei21rocsparse_complex_numIdEEEvT0_S3_ll21rocsparse_index_base_PKT1_PKS3_PS5_16rocsparse_order_.uses_vcc, 1
	.set _ZN9rocsparseL20coo2dense_aos_kernelILj512Ei21rocsparse_complex_numIdEEEvT0_S3_ll21rocsparse_index_base_PKT1_PKS3_PS5_16rocsparse_order_.uses_flat_scratch, 0
	.set _ZN9rocsparseL20coo2dense_aos_kernelILj512Ei21rocsparse_complex_numIdEEEvT0_S3_ll21rocsparse_index_base_PKT1_PKS3_PS5_16rocsparse_order_.has_dyn_sized_stack, 0
	.set _ZN9rocsparseL20coo2dense_aos_kernelILj512Ei21rocsparse_complex_numIdEEEvT0_S3_ll21rocsparse_index_base_PKT1_PKS3_PS5_16rocsparse_order_.has_recursion, 0
	.set _ZN9rocsparseL20coo2dense_aos_kernelILj512Ei21rocsparse_complex_numIdEEEvT0_S3_ll21rocsparse_index_base_PKT1_PKS3_PS5_16rocsparse_order_.has_indirect_call, 0
	.section	.AMDGPU.csdata,"",@progbits
; Kernel info:
; codeLenInByte = 348
; TotalNumSgprs: 19
; NumVgprs: 14
; ScratchSize: 0
; MemoryBound: 0
; FloatMode: 240
; IeeeMode: 1
; LDSByteSize: 0 bytes/workgroup (compile time only)
; SGPRBlocks: 0
; VGPRBlocks: 0
; NumSGPRsForWavesPerEU: 19
; NumVGPRsForWavesPerEU: 14
; NamedBarCnt: 0
; Occupancy: 16
; WaveLimiterHint : 1
; COMPUTE_PGM_RSRC2:SCRATCH_EN: 0
; COMPUTE_PGM_RSRC2:USER_SGPR: 2
; COMPUTE_PGM_RSRC2:TRAP_HANDLER: 0
; COMPUTE_PGM_RSRC2:TGID_X_EN: 1
; COMPUTE_PGM_RSRC2:TGID_Y_EN: 0
; COMPUTE_PGM_RSRC2:TGID_Z_EN: 0
; COMPUTE_PGM_RSRC2:TIDIG_COMP_CNT: 0
	.section	.text._ZN9rocsparseL20coo2dense_aos_kernelILj512ElDF16_EEvT0_S1_ll21rocsparse_index_base_PKT1_PKS1_PS3_16rocsparse_order_,"axG",@progbits,_ZN9rocsparseL20coo2dense_aos_kernelILj512ElDF16_EEvT0_S1_ll21rocsparse_index_base_PKT1_PKS1_PS3_16rocsparse_order_,comdat
	.globl	_ZN9rocsparseL20coo2dense_aos_kernelILj512ElDF16_EEvT0_S1_ll21rocsparse_index_base_PKT1_PKS1_PS3_16rocsparse_order_ ; -- Begin function _ZN9rocsparseL20coo2dense_aos_kernelILj512ElDF16_EEvT0_S1_ll21rocsparse_index_base_PKT1_PKS1_PS3_16rocsparse_order_
	.p2align	8
	.type	_ZN9rocsparseL20coo2dense_aos_kernelILj512ElDF16_EEvT0_S1_ll21rocsparse_index_base_PKT1_PKS1_PS3_16rocsparse_order_,@function
_ZN9rocsparseL20coo2dense_aos_kernelILj512ElDF16_EEvT0_S1_ll21rocsparse_index_base_PKT1_PKS1_PS3_16rocsparse_order_: ; @_ZN9rocsparseL20coo2dense_aos_kernelILj512ElDF16_EEvT0_S1_ll21rocsparse_index_base_PKT1_PKS1_PS3_16rocsparse_order_
; %bb.0:
	s_load_b128 s[4:7], s[0:1], 0x10
	s_bfe_u32 s2, ttmp6, 0x4000c
	s_and_b32 s3, ttmp6, 15
	s_add_co_i32 s2, s2, 1
	s_getreg_b32 s8, hwreg(HW_REG_IB_STS2, 6, 4)
	s_mul_i32 s2, ttmp9, s2
	v_mov_b32_e32 v3, 0
	s_add_co_i32 s3, s3, s2
	s_cmp_eq_u32 s8, 0
	s_mov_b32 s2, exec_lo
	s_cselect_b32 s15, ttmp9, s3
	s_mov_b32 s3, 0
	v_lshl_or_b32 v2, s15, 9, v0
	s_wait_kmcnt 0x0
	s_delay_alu instid0(VALU_DEP_1)
	v_cmpx_gt_i64_e64 s[4:5], v[2:3]
	s_cbranch_execz .LBB5_3
; %bb.1:
	s_clause 0x3
	s_load_b32 s16, s[0:1], 0x48
	s_load_b96 s[12:14], s[0:1], 0x38
	s_load_b32 s2, s[0:1], 0x20
	s_load_b128 s[8:11], s[0:1], 0x28
	v_mov_b64_e32 v[4:5], v[2:3]
	s_wait_kmcnt 0x0
	s_lshl_b32 s1, s16, 9
	s_delay_alu instid0(SALU_CYCLE_1) | instskip(SKIP_2) | instid1(VALU_DEP_1)
	v_dual_lshlrev_b32 v1, 1, v0 :: v_dual_add_nc_u32 v0, s1, v2
	s_cmp_eq_u32 s14, 1
	s_cselect_b32 vcc_lo, -1, 0
	v_lshl_or_b32 v2, s15, 10, v1
	s_lshl_b32 s14, s16, 10
	s_mov_b32 s15, s3
.LBB5_2:                                ; =>This Inner Loop Header: Depth=1
	s_delay_alu instid0(VALU_DEP_1)
	v_lshl_add_u64 v[6:7], v[2:3], 3, s[10:11]
	v_lshl_add_u64 v[4:5], v[4:5], 1, s[8:9]
	v_add_nc_u32_e32 v2, s14, v2
	global_load_b128 v[6:9], v[6:7], off
	global_load_u16 v10, v[4:5], off
	s_wait_loadcnt 0x1
	s_wait_xcnt 0x0
	v_sub_nc_u64_e64 v[4:5], v[6:7], s[2:3]
	v_sub_nc_u64_e64 v[6:7], v[8:9], s[2:3]
	s_delay_alu instid0(VALU_DEP_1) | instskip(NEXT) | instid1(VALU_DEP_2)
	v_dual_mov_b32 v1, v3 :: v_dual_cndmask_b32 v9, v5, v7, vcc_lo
	v_dual_cndmask_b32 v8, v4, v6 :: v_dual_cndmask_b32 v7, v7, v5
	v_cndmask_b32_e32 v6, v6, v4, vcc_lo
	s_delay_alu instid0(VALU_DEP_3) | instskip(SKIP_1) | instid1(VALU_DEP_4)
	v_cmp_le_u64_e64 s0, s[4:5], v[0:1]
	v_mov_b64_e32 v[4:5], v[0:1]
	v_mul_u64_e32 v[8:9], s[6:7], v[8:9]
	v_add_nc_u32_e32 v0, s1, v0
	s_or_b32 s15, s0, s15
	s_delay_alu instid0(VALU_DEP_2) | instskip(NEXT) | instid1(VALU_DEP_1)
	v_lshl_add_u64 v[8:9], v[8:9], 1, s[12:13]
	v_lshl_add_u64 v[6:7], v[6:7], 1, v[8:9]
	s_wait_loadcnt 0x0
	global_store_b16 v[6:7], v10, off
	s_wait_xcnt 0x0
	s_and_not1_b32 exec_lo, exec_lo, s15
	s_cbranch_execnz .LBB5_2
.LBB5_3:
	s_endpgm
	.section	.rodata,"a",@progbits
	.p2align	6, 0x0
	.amdhsa_kernel _ZN9rocsparseL20coo2dense_aos_kernelILj512ElDF16_EEvT0_S1_ll21rocsparse_index_base_PKT1_PKS1_PS3_16rocsparse_order_
		.amdhsa_group_segment_fixed_size 0
		.amdhsa_private_segment_fixed_size 0
		.amdhsa_kernarg_size 328
		.amdhsa_user_sgpr_count 2
		.amdhsa_user_sgpr_dispatch_ptr 0
		.amdhsa_user_sgpr_queue_ptr 0
		.amdhsa_user_sgpr_kernarg_segment_ptr 1
		.amdhsa_user_sgpr_dispatch_id 0
		.amdhsa_user_sgpr_kernarg_preload_length 0
		.amdhsa_user_sgpr_kernarg_preload_offset 0
		.amdhsa_user_sgpr_private_segment_size 0
		.amdhsa_wavefront_size32 1
		.amdhsa_uses_dynamic_stack 0
		.amdhsa_enable_private_segment 0
		.amdhsa_system_sgpr_workgroup_id_x 1
		.amdhsa_system_sgpr_workgroup_id_y 0
		.amdhsa_system_sgpr_workgroup_id_z 0
		.amdhsa_system_sgpr_workgroup_info 0
		.amdhsa_system_vgpr_workitem_id 0
		.amdhsa_next_free_vgpr 11
		.amdhsa_next_free_sgpr 17
		.amdhsa_named_barrier_count 0
		.amdhsa_reserve_vcc 1
		.amdhsa_float_round_mode_32 0
		.amdhsa_float_round_mode_16_64 0
		.amdhsa_float_denorm_mode_32 3
		.amdhsa_float_denorm_mode_16_64 3
		.amdhsa_fp16_overflow 0
		.amdhsa_memory_ordered 1
		.amdhsa_forward_progress 1
		.amdhsa_inst_pref_size 3
		.amdhsa_round_robin_scheduling 0
		.amdhsa_exception_fp_ieee_invalid_op 0
		.amdhsa_exception_fp_denorm_src 0
		.amdhsa_exception_fp_ieee_div_zero 0
		.amdhsa_exception_fp_ieee_overflow 0
		.amdhsa_exception_fp_ieee_underflow 0
		.amdhsa_exception_fp_ieee_inexact 0
		.amdhsa_exception_int_div_zero 0
	.end_amdhsa_kernel
	.section	.text._ZN9rocsparseL20coo2dense_aos_kernelILj512ElDF16_EEvT0_S1_ll21rocsparse_index_base_PKT1_PKS1_PS3_16rocsparse_order_,"axG",@progbits,_ZN9rocsparseL20coo2dense_aos_kernelILj512ElDF16_EEvT0_S1_ll21rocsparse_index_base_PKT1_PKS1_PS3_16rocsparse_order_,comdat
.Lfunc_end5:
	.size	_ZN9rocsparseL20coo2dense_aos_kernelILj512ElDF16_EEvT0_S1_ll21rocsparse_index_base_PKT1_PKS1_PS3_16rocsparse_order_, .Lfunc_end5-_ZN9rocsparseL20coo2dense_aos_kernelILj512ElDF16_EEvT0_S1_ll21rocsparse_index_base_PKT1_PKS1_PS3_16rocsparse_order_
                                        ; -- End function
	.set _ZN9rocsparseL20coo2dense_aos_kernelILj512ElDF16_EEvT0_S1_ll21rocsparse_index_base_PKT1_PKS1_PS3_16rocsparse_order_.num_vgpr, 11
	.set _ZN9rocsparseL20coo2dense_aos_kernelILj512ElDF16_EEvT0_S1_ll21rocsparse_index_base_PKT1_PKS1_PS3_16rocsparse_order_.num_agpr, 0
	.set _ZN9rocsparseL20coo2dense_aos_kernelILj512ElDF16_EEvT0_S1_ll21rocsparse_index_base_PKT1_PKS1_PS3_16rocsparse_order_.numbered_sgpr, 17
	.set _ZN9rocsparseL20coo2dense_aos_kernelILj512ElDF16_EEvT0_S1_ll21rocsparse_index_base_PKT1_PKS1_PS3_16rocsparse_order_.num_named_barrier, 0
	.set _ZN9rocsparseL20coo2dense_aos_kernelILj512ElDF16_EEvT0_S1_ll21rocsparse_index_base_PKT1_PKS1_PS3_16rocsparse_order_.private_seg_size, 0
	.set _ZN9rocsparseL20coo2dense_aos_kernelILj512ElDF16_EEvT0_S1_ll21rocsparse_index_base_PKT1_PKS1_PS3_16rocsparse_order_.uses_vcc, 1
	.set _ZN9rocsparseL20coo2dense_aos_kernelILj512ElDF16_EEvT0_S1_ll21rocsparse_index_base_PKT1_PKS1_PS3_16rocsparse_order_.uses_flat_scratch, 0
	.set _ZN9rocsparseL20coo2dense_aos_kernelILj512ElDF16_EEvT0_S1_ll21rocsparse_index_base_PKT1_PKS1_PS3_16rocsparse_order_.has_dyn_sized_stack, 0
	.set _ZN9rocsparseL20coo2dense_aos_kernelILj512ElDF16_EEvT0_S1_ll21rocsparse_index_base_PKT1_PKS1_PS3_16rocsparse_order_.has_recursion, 0
	.set _ZN9rocsparseL20coo2dense_aos_kernelILj512ElDF16_EEvT0_S1_ll21rocsparse_index_base_PKT1_PKS1_PS3_16rocsparse_order_.has_indirect_call, 0
	.section	.AMDGPU.csdata,"",@progbits
; Kernel info:
; codeLenInByte = 352
; TotalNumSgprs: 19
; NumVgprs: 11
; ScratchSize: 0
; MemoryBound: 0
; FloatMode: 240
; IeeeMode: 1
; LDSByteSize: 0 bytes/workgroup (compile time only)
; SGPRBlocks: 0
; VGPRBlocks: 0
; NumSGPRsForWavesPerEU: 19
; NumVGPRsForWavesPerEU: 11
; NamedBarCnt: 0
; Occupancy: 16
; WaveLimiterHint : 1
; COMPUTE_PGM_RSRC2:SCRATCH_EN: 0
; COMPUTE_PGM_RSRC2:USER_SGPR: 2
; COMPUTE_PGM_RSRC2:TRAP_HANDLER: 0
; COMPUTE_PGM_RSRC2:TGID_X_EN: 1
; COMPUTE_PGM_RSRC2:TGID_Y_EN: 0
; COMPUTE_PGM_RSRC2:TGID_Z_EN: 0
; COMPUTE_PGM_RSRC2:TIDIG_COMP_CNT: 0
	.section	.text._ZN9rocsparseL20coo2dense_aos_kernelILj512ElfEEvT0_S1_ll21rocsparse_index_base_PKT1_PKS1_PS3_16rocsparse_order_,"axG",@progbits,_ZN9rocsparseL20coo2dense_aos_kernelILj512ElfEEvT0_S1_ll21rocsparse_index_base_PKT1_PKS1_PS3_16rocsparse_order_,comdat
	.globl	_ZN9rocsparseL20coo2dense_aos_kernelILj512ElfEEvT0_S1_ll21rocsparse_index_base_PKT1_PKS1_PS3_16rocsparse_order_ ; -- Begin function _ZN9rocsparseL20coo2dense_aos_kernelILj512ElfEEvT0_S1_ll21rocsparse_index_base_PKT1_PKS1_PS3_16rocsparse_order_
	.p2align	8
	.type	_ZN9rocsparseL20coo2dense_aos_kernelILj512ElfEEvT0_S1_ll21rocsparse_index_base_PKT1_PKS1_PS3_16rocsparse_order_,@function
_ZN9rocsparseL20coo2dense_aos_kernelILj512ElfEEvT0_S1_ll21rocsparse_index_base_PKT1_PKS1_PS3_16rocsparse_order_: ; @_ZN9rocsparseL20coo2dense_aos_kernelILj512ElfEEvT0_S1_ll21rocsparse_index_base_PKT1_PKS1_PS3_16rocsparse_order_
; %bb.0:
	s_load_b128 s[4:7], s[0:1], 0x10
	s_bfe_u32 s2, ttmp6, 0x4000c
	s_and_b32 s3, ttmp6, 15
	s_add_co_i32 s2, s2, 1
	s_getreg_b32 s8, hwreg(HW_REG_IB_STS2, 6, 4)
	s_mul_i32 s2, ttmp9, s2
	v_mov_b32_e32 v3, 0
	s_add_co_i32 s3, s3, s2
	s_cmp_eq_u32 s8, 0
	s_mov_b32 s2, exec_lo
	s_cselect_b32 s15, ttmp9, s3
	s_mov_b32 s3, 0
	v_lshl_or_b32 v2, s15, 9, v0
	s_wait_kmcnt 0x0
	s_delay_alu instid0(VALU_DEP_1)
	v_cmpx_gt_i64_e64 s[4:5], v[2:3]
	s_cbranch_execz .LBB6_3
; %bb.1:
	s_clause 0x3
	s_load_b32 s16, s[0:1], 0x48
	s_load_b96 s[12:14], s[0:1], 0x38
	s_load_b32 s2, s[0:1], 0x20
	s_load_b128 s[8:11], s[0:1], 0x28
	v_mov_b64_e32 v[4:5], v[2:3]
	s_wait_kmcnt 0x0
	s_lshl_b32 s1, s16, 9
	s_delay_alu instid0(SALU_CYCLE_1) | instskip(SKIP_2) | instid1(VALU_DEP_1)
	v_dual_lshlrev_b32 v1, 1, v0 :: v_dual_add_nc_u32 v0, s1, v2
	s_cmp_eq_u32 s14, 1
	s_cselect_b32 vcc_lo, -1, 0
	v_lshl_or_b32 v2, s15, 10, v1
	s_lshl_b32 s14, s16, 10
	s_mov_b32 s15, s3
.LBB6_2:                                ; =>This Inner Loop Header: Depth=1
	s_delay_alu instid0(VALU_DEP_1)
	v_lshl_add_u64 v[6:7], v[2:3], 3, s[10:11]
	v_lshl_add_u64 v[4:5], v[4:5], 2, s[8:9]
	v_add_nc_u32_e32 v2, s14, v2
	global_load_b128 v[6:9], v[6:7], off
	global_load_b32 v10, v[4:5], off
	s_wait_loadcnt 0x1
	s_wait_xcnt 0x0
	v_sub_nc_u64_e64 v[4:5], v[6:7], s[2:3]
	v_sub_nc_u64_e64 v[6:7], v[8:9], s[2:3]
	s_delay_alu instid0(VALU_DEP_1) | instskip(NEXT) | instid1(VALU_DEP_2)
	v_dual_mov_b32 v1, v3 :: v_dual_cndmask_b32 v9, v5, v7, vcc_lo
	v_dual_cndmask_b32 v8, v4, v6 :: v_dual_cndmask_b32 v7, v7, v5
	v_cndmask_b32_e32 v6, v6, v4, vcc_lo
	s_delay_alu instid0(VALU_DEP_3) | instskip(SKIP_1) | instid1(VALU_DEP_4)
	v_cmp_le_u64_e64 s0, s[4:5], v[0:1]
	v_mov_b64_e32 v[4:5], v[0:1]
	v_mul_u64_e32 v[8:9], s[6:7], v[8:9]
	v_add_nc_u32_e32 v0, s1, v0
	s_or_b32 s15, s0, s15
	s_delay_alu instid0(VALU_DEP_2) | instskip(NEXT) | instid1(VALU_DEP_1)
	v_lshl_add_u64 v[8:9], v[8:9], 2, s[12:13]
	v_lshl_add_u64 v[6:7], v[6:7], 2, v[8:9]
	s_wait_loadcnt 0x0
	global_store_b32 v[6:7], v10, off
	s_wait_xcnt 0x0
	s_and_not1_b32 exec_lo, exec_lo, s15
	s_cbranch_execnz .LBB6_2
.LBB6_3:
	s_endpgm
	.section	.rodata,"a",@progbits
	.p2align	6, 0x0
	.amdhsa_kernel _ZN9rocsparseL20coo2dense_aos_kernelILj512ElfEEvT0_S1_ll21rocsparse_index_base_PKT1_PKS1_PS3_16rocsparse_order_
		.amdhsa_group_segment_fixed_size 0
		.amdhsa_private_segment_fixed_size 0
		.amdhsa_kernarg_size 328
		.amdhsa_user_sgpr_count 2
		.amdhsa_user_sgpr_dispatch_ptr 0
		.amdhsa_user_sgpr_queue_ptr 0
		.amdhsa_user_sgpr_kernarg_segment_ptr 1
		.amdhsa_user_sgpr_dispatch_id 0
		.amdhsa_user_sgpr_kernarg_preload_length 0
		.amdhsa_user_sgpr_kernarg_preload_offset 0
		.amdhsa_user_sgpr_private_segment_size 0
		.amdhsa_wavefront_size32 1
		.amdhsa_uses_dynamic_stack 0
		.amdhsa_enable_private_segment 0
		.amdhsa_system_sgpr_workgroup_id_x 1
		.amdhsa_system_sgpr_workgroup_id_y 0
		.amdhsa_system_sgpr_workgroup_id_z 0
		.amdhsa_system_sgpr_workgroup_info 0
		.amdhsa_system_vgpr_workitem_id 0
		.amdhsa_next_free_vgpr 11
		.amdhsa_next_free_sgpr 17
		.amdhsa_named_barrier_count 0
		.amdhsa_reserve_vcc 1
		.amdhsa_float_round_mode_32 0
		.amdhsa_float_round_mode_16_64 0
		.amdhsa_float_denorm_mode_32 3
		.amdhsa_float_denorm_mode_16_64 3
		.amdhsa_fp16_overflow 0
		.amdhsa_memory_ordered 1
		.amdhsa_forward_progress 1
		.amdhsa_inst_pref_size 3
		.amdhsa_round_robin_scheduling 0
		.amdhsa_exception_fp_ieee_invalid_op 0
		.amdhsa_exception_fp_denorm_src 0
		.amdhsa_exception_fp_ieee_div_zero 0
		.amdhsa_exception_fp_ieee_overflow 0
		.amdhsa_exception_fp_ieee_underflow 0
		.amdhsa_exception_fp_ieee_inexact 0
		.amdhsa_exception_int_div_zero 0
	.end_amdhsa_kernel
	.section	.text._ZN9rocsparseL20coo2dense_aos_kernelILj512ElfEEvT0_S1_ll21rocsparse_index_base_PKT1_PKS1_PS3_16rocsparse_order_,"axG",@progbits,_ZN9rocsparseL20coo2dense_aos_kernelILj512ElfEEvT0_S1_ll21rocsparse_index_base_PKT1_PKS1_PS3_16rocsparse_order_,comdat
.Lfunc_end6:
	.size	_ZN9rocsparseL20coo2dense_aos_kernelILj512ElfEEvT0_S1_ll21rocsparse_index_base_PKT1_PKS1_PS3_16rocsparse_order_, .Lfunc_end6-_ZN9rocsparseL20coo2dense_aos_kernelILj512ElfEEvT0_S1_ll21rocsparse_index_base_PKT1_PKS1_PS3_16rocsparse_order_
                                        ; -- End function
	.set _ZN9rocsparseL20coo2dense_aos_kernelILj512ElfEEvT0_S1_ll21rocsparse_index_base_PKT1_PKS1_PS3_16rocsparse_order_.num_vgpr, 11
	.set _ZN9rocsparseL20coo2dense_aos_kernelILj512ElfEEvT0_S1_ll21rocsparse_index_base_PKT1_PKS1_PS3_16rocsparse_order_.num_agpr, 0
	.set _ZN9rocsparseL20coo2dense_aos_kernelILj512ElfEEvT0_S1_ll21rocsparse_index_base_PKT1_PKS1_PS3_16rocsparse_order_.numbered_sgpr, 17
	.set _ZN9rocsparseL20coo2dense_aos_kernelILj512ElfEEvT0_S1_ll21rocsparse_index_base_PKT1_PKS1_PS3_16rocsparse_order_.num_named_barrier, 0
	.set _ZN9rocsparseL20coo2dense_aos_kernelILj512ElfEEvT0_S1_ll21rocsparse_index_base_PKT1_PKS1_PS3_16rocsparse_order_.private_seg_size, 0
	.set _ZN9rocsparseL20coo2dense_aos_kernelILj512ElfEEvT0_S1_ll21rocsparse_index_base_PKT1_PKS1_PS3_16rocsparse_order_.uses_vcc, 1
	.set _ZN9rocsparseL20coo2dense_aos_kernelILj512ElfEEvT0_S1_ll21rocsparse_index_base_PKT1_PKS1_PS3_16rocsparse_order_.uses_flat_scratch, 0
	.set _ZN9rocsparseL20coo2dense_aos_kernelILj512ElfEEvT0_S1_ll21rocsparse_index_base_PKT1_PKS1_PS3_16rocsparse_order_.has_dyn_sized_stack, 0
	.set _ZN9rocsparseL20coo2dense_aos_kernelILj512ElfEEvT0_S1_ll21rocsparse_index_base_PKT1_PKS1_PS3_16rocsparse_order_.has_recursion, 0
	.set _ZN9rocsparseL20coo2dense_aos_kernelILj512ElfEEvT0_S1_ll21rocsparse_index_base_PKT1_PKS1_PS3_16rocsparse_order_.has_indirect_call, 0
	.section	.AMDGPU.csdata,"",@progbits
; Kernel info:
; codeLenInByte = 352
; TotalNumSgprs: 19
; NumVgprs: 11
; ScratchSize: 0
; MemoryBound: 0
; FloatMode: 240
; IeeeMode: 1
; LDSByteSize: 0 bytes/workgroup (compile time only)
; SGPRBlocks: 0
; VGPRBlocks: 0
; NumSGPRsForWavesPerEU: 19
; NumVGPRsForWavesPerEU: 11
; NamedBarCnt: 0
; Occupancy: 16
; WaveLimiterHint : 1
; COMPUTE_PGM_RSRC2:SCRATCH_EN: 0
; COMPUTE_PGM_RSRC2:USER_SGPR: 2
; COMPUTE_PGM_RSRC2:TRAP_HANDLER: 0
; COMPUTE_PGM_RSRC2:TGID_X_EN: 1
; COMPUTE_PGM_RSRC2:TGID_Y_EN: 0
; COMPUTE_PGM_RSRC2:TGID_Z_EN: 0
; COMPUTE_PGM_RSRC2:TIDIG_COMP_CNT: 0
	.section	.text._ZN9rocsparseL20coo2dense_aos_kernelILj512EldEEvT0_S1_ll21rocsparse_index_base_PKT1_PKS1_PS3_16rocsparse_order_,"axG",@progbits,_ZN9rocsparseL20coo2dense_aos_kernelILj512EldEEvT0_S1_ll21rocsparse_index_base_PKT1_PKS1_PS3_16rocsparse_order_,comdat
	.globl	_ZN9rocsparseL20coo2dense_aos_kernelILj512EldEEvT0_S1_ll21rocsparse_index_base_PKT1_PKS1_PS3_16rocsparse_order_ ; -- Begin function _ZN9rocsparseL20coo2dense_aos_kernelILj512EldEEvT0_S1_ll21rocsparse_index_base_PKT1_PKS1_PS3_16rocsparse_order_
	.p2align	8
	.type	_ZN9rocsparseL20coo2dense_aos_kernelILj512EldEEvT0_S1_ll21rocsparse_index_base_PKT1_PKS1_PS3_16rocsparse_order_,@function
_ZN9rocsparseL20coo2dense_aos_kernelILj512EldEEvT0_S1_ll21rocsparse_index_base_PKT1_PKS1_PS3_16rocsparse_order_: ; @_ZN9rocsparseL20coo2dense_aos_kernelILj512EldEEvT0_S1_ll21rocsparse_index_base_PKT1_PKS1_PS3_16rocsparse_order_
; %bb.0:
	s_load_b128 s[4:7], s[0:1], 0x10
	s_bfe_u32 s2, ttmp6, 0x4000c
	s_and_b32 s3, ttmp6, 15
	s_add_co_i32 s2, s2, 1
	s_getreg_b32 s8, hwreg(HW_REG_IB_STS2, 6, 4)
	s_mul_i32 s2, ttmp9, s2
	v_mov_b32_e32 v3, 0
	s_add_co_i32 s3, s3, s2
	s_cmp_eq_u32 s8, 0
	s_mov_b32 s2, exec_lo
	s_cselect_b32 s15, ttmp9, s3
	s_mov_b32 s3, 0
	v_lshl_or_b32 v2, s15, 9, v0
	s_wait_kmcnt 0x0
	s_delay_alu instid0(VALU_DEP_1)
	v_cmpx_gt_i64_e64 s[4:5], v[2:3]
	s_cbranch_execz .LBB7_3
; %bb.1:
	s_clause 0x3
	s_load_b32 s16, s[0:1], 0x48
	s_load_b96 s[12:14], s[0:1], 0x38
	s_load_b32 s2, s[0:1], 0x20
	s_load_b128 s[8:11], s[0:1], 0x28
	v_mov_b64_e32 v[4:5], v[2:3]
	s_wait_kmcnt 0x0
	s_lshl_b32 s1, s16, 9
	s_delay_alu instid0(SALU_CYCLE_1) | instskip(SKIP_2) | instid1(VALU_DEP_1)
	v_dual_lshlrev_b32 v1, 1, v0 :: v_dual_add_nc_u32 v0, s1, v2
	s_cmp_eq_u32 s14, 1
	s_cselect_b32 vcc_lo, -1, 0
	v_lshl_or_b32 v2, s15, 10, v1
	s_lshl_b32 s14, s16, 10
	s_mov_b32 s15, s3
.LBB7_2:                                ; =>This Inner Loop Header: Depth=1
	s_delay_alu instid0(VALU_DEP_1)
	v_lshl_add_u64 v[6:7], v[2:3], 3, s[10:11]
	v_lshl_add_u64 v[4:5], v[4:5], 3, s[8:9]
	v_add_nc_u32_e32 v2, s14, v2
	global_load_b128 v[6:9], v[6:7], off
	global_load_b64 v[10:11], v[4:5], off
	s_wait_loadcnt 0x1
	s_wait_xcnt 0x0
	v_sub_nc_u64_e64 v[4:5], v[6:7], s[2:3]
	v_sub_nc_u64_e64 v[6:7], v[8:9], s[2:3]
	s_delay_alu instid0(VALU_DEP_1) | instskip(NEXT) | instid1(VALU_DEP_2)
	v_dual_mov_b32 v1, v3 :: v_dual_cndmask_b32 v9, v5, v7, vcc_lo
	v_dual_cndmask_b32 v8, v4, v6 :: v_dual_cndmask_b32 v7, v7, v5
	v_cndmask_b32_e32 v6, v6, v4, vcc_lo
	s_delay_alu instid0(VALU_DEP_3) | instskip(SKIP_1) | instid1(VALU_DEP_4)
	v_cmp_le_u64_e64 s0, s[4:5], v[0:1]
	v_mov_b64_e32 v[4:5], v[0:1]
	v_mul_u64_e32 v[8:9], s[6:7], v[8:9]
	v_add_nc_u32_e32 v0, s1, v0
	s_or_b32 s15, s0, s15
	s_delay_alu instid0(VALU_DEP_2) | instskip(NEXT) | instid1(VALU_DEP_1)
	v_lshl_add_u64 v[8:9], v[8:9], 3, s[12:13]
	v_lshl_add_u64 v[6:7], v[6:7], 3, v[8:9]
	s_wait_loadcnt 0x0
	global_store_b64 v[6:7], v[10:11], off
	s_wait_xcnt 0x0
	s_and_not1_b32 exec_lo, exec_lo, s15
	s_cbranch_execnz .LBB7_2
.LBB7_3:
	s_endpgm
	.section	.rodata,"a",@progbits
	.p2align	6, 0x0
	.amdhsa_kernel _ZN9rocsparseL20coo2dense_aos_kernelILj512EldEEvT0_S1_ll21rocsparse_index_base_PKT1_PKS1_PS3_16rocsparse_order_
		.amdhsa_group_segment_fixed_size 0
		.amdhsa_private_segment_fixed_size 0
		.amdhsa_kernarg_size 328
		.amdhsa_user_sgpr_count 2
		.amdhsa_user_sgpr_dispatch_ptr 0
		.amdhsa_user_sgpr_queue_ptr 0
		.amdhsa_user_sgpr_kernarg_segment_ptr 1
		.amdhsa_user_sgpr_dispatch_id 0
		.amdhsa_user_sgpr_kernarg_preload_length 0
		.amdhsa_user_sgpr_kernarg_preload_offset 0
		.amdhsa_user_sgpr_private_segment_size 0
		.amdhsa_wavefront_size32 1
		.amdhsa_uses_dynamic_stack 0
		.amdhsa_enable_private_segment 0
		.amdhsa_system_sgpr_workgroup_id_x 1
		.amdhsa_system_sgpr_workgroup_id_y 0
		.amdhsa_system_sgpr_workgroup_id_z 0
		.amdhsa_system_sgpr_workgroup_info 0
		.amdhsa_system_vgpr_workitem_id 0
		.amdhsa_next_free_vgpr 12
		.amdhsa_next_free_sgpr 17
		.amdhsa_named_barrier_count 0
		.amdhsa_reserve_vcc 1
		.amdhsa_float_round_mode_32 0
		.amdhsa_float_round_mode_16_64 0
		.amdhsa_float_denorm_mode_32 3
		.amdhsa_float_denorm_mode_16_64 3
		.amdhsa_fp16_overflow 0
		.amdhsa_memory_ordered 1
		.amdhsa_forward_progress 1
		.amdhsa_inst_pref_size 3
		.amdhsa_round_robin_scheduling 0
		.amdhsa_exception_fp_ieee_invalid_op 0
		.amdhsa_exception_fp_denorm_src 0
		.amdhsa_exception_fp_ieee_div_zero 0
		.amdhsa_exception_fp_ieee_overflow 0
		.amdhsa_exception_fp_ieee_underflow 0
		.amdhsa_exception_fp_ieee_inexact 0
		.amdhsa_exception_int_div_zero 0
	.end_amdhsa_kernel
	.section	.text._ZN9rocsparseL20coo2dense_aos_kernelILj512EldEEvT0_S1_ll21rocsparse_index_base_PKT1_PKS1_PS3_16rocsparse_order_,"axG",@progbits,_ZN9rocsparseL20coo2dense_aos_kernelILj512EldEEvT0_S1_ll21rocsparse_index_base_PKT1_PKS1_PS3_16rocsparse_order_,comdat
.Lfunc_end7:
	.size	_ZN9rocsparseL20coo2dense_aos_kernelILj512EldEEvT0_S1_ll21rocsparse_index_base_PKT1_PKS1_PS3_16rocsparse_order_, .Lfunc_end7-_ZN9rocsparseL20coo2dense_aos_kernelILj512EldEEvT0_S1_ll21rocsparse_index_base_PKT1_PKS1_PS3_16rocsparse_order_
                                        ; -- End function
	.set _ZN9rocsparseL20coo2dense_aos_kernelILj512EldEEvT0_S1_ll21rocsparse_index_base_PKT1_PKS1_PS3_16rocsparse_order_.num_vgpr, 12
	.set _ZN9rocsparseL20coo2dense_aos_kernelILj512EldEEvT0_S1_ll21rocsparse_index_base_PKT1_PKS1_PS3_16rocsparse_order_.num_agpr, 0
	.set _ZN9rocsparseL20coo2dense_aos_kernelILj512EldEEvT0_S1_ll21rocsparse_index_base_PKT1_PKS1_PS3_16rocsparse_order_.numbered_sgpr, 17
	.set _ZN9rocsparseL20coo2dense_aos_kernelILj512EldEEvT0_S1_ll21rocsparse_index_base_PKT1_PKS1_PS3_16rocsparse_order_.num_named_barrier, 0
	.set _ZN9rocsparseL20coo2dense_aos_kernelILj512EldEEvT0_S1_ll21rocsparse_index_base_PKT1_PKS1_PS3_16rocsparse_order_.private_seg_size, 0
	.set _ZN9rocsparseL20coo2dense_aos_kernelILj512EldEEvT0_S1_ll21rocsparse_index_base_PKT1_PKS1_PS3_16rocsparse_order_.uses_vcc, 1
	.set _ZN9rocsparseL20coo2dense_aos_kernelILj512EldEEvT0_S1_ll21rocsparse_index_base_PKT1_PKS1_PS3_16rocsparse_order_.uses_flat_scratch, 0
	.set _ZN9rocsparseL20coo2dense_aos_kernelILj512EldEEvT0_S1_ll21rocsparse_index_base_PKT1_PKS1_PS3_16rocsparse_order_.has_dyn_sized_stack, 0
	.set _ZN9rocsparseL20coo2dense_aos_kernelILj512EldEEvT0_S1_ll21rocsparse_index_base_PKT1_PKS1_PS3_16rocsparse_order_.has_recursion, 0
	.set _ZN9rocsparseL20coo2dense_aos_kernelILj512EldEEvT0_S1_ll21rocsparse_index_base_PKT1_PKS1_PS3_16rocsparse_order_.has_indirect_call, 0
	.section	.AMDGPU.csdata,"",@progbits
; Kernel info:
; codeLenInByte = 352
; TotalNumSgprs: 19
; NumVgprs: 12
; ScratchSize: 0
; MemoryBound: 0
; FloatMode: 240
; IeeeMode: 1
; LDSByteSize: 0 bytes/workgroup (compile time only)
; SGPRBlocks: 0
; VGPRBlocks: 0
; NumSGPRsForWavesPerEU: 19
; NumVGPRsForWavesPerEU: 12
; NamedBarCnt: 0
; Occupancy: 16
; WaveLimiterHint : 1
; COMPUTE_PGM_RSRC2:SCRATCH_EN: 0
; COMPUTE_PGM_RSRC2:USER_SGPR: 2
; COMPUTE_PGM_RSRC2:TRAP_HANDLER: 0
; COMPUTE_PGM_RSRC2:TGID_X_EN: 1
; COMPUTE_PGM_RSRC2:TGID_Y_EN: 0
; COMPUTE_PGM_RSRC2:TGID_Z_EN: 0
; COMPUTE_PGM_RSRC2:TIDIG_COMP_CNT: 0
	.section	.text._ZN9rocsparseL20coo2dense_aos_kernelILj512El21rocsparse_complex_numIfEEEvT0_S3_ll21rocsparse_index_base_PKT1_PKS3_PS5_16rocsparse_order_,"axG",@progbits,_ZN9rocsparseL20coo2dense_aos_kernelILj512El21rocsparse_complex_numIfEEEvT0_S3_ll21rocsparse_index_base_PKT1_PKS3_PS5_16rocsparse_order_,comdat
	.globl	_ZN9rocsparseL20coo2dense_aos_kernelILj512El21rocsparse_complex_numIfEEEvT0_S3_ll21rocsparse_index_base_PKT1_PKS3_PS5_16rocsparse_order_ ; -- Begin function _ZN9rocsparseL20coo2dense_aos_kernelILj512El21rocsparse_complex_numIfEEEvT0_S3_ll21rocsparse_index_base_PKT1_PKS3_PS5_16rocsparse_order_
	.p2align	8
	.type	_ZN9rocsparseL20coo2dense_aos_kernelILj512El21rocsparse_complex_numIfEEEvT0_S3_ll21rocsparse_index_base_PKT1_PKS3_PS5_16rocsparse_order_,@function
_ZN9rocsparseL20coo2dense_aos_kernelILj512El21rocsparse_complex_numIfEEEvT0_S3_ll21rocsparse_index_base_PKT1_PKS3_PS5_16rocsparse_order_: ; @_ZN9rocsparseL20coo2dense_aos_kernelILj512El21rocsparse_complex_numIfEEEvT0_S3_ll21rocsparse_index_base_PKT1_PKS3_PS5_16rocsparse_order_
; %bb.0:
	s_load_b128 s[4:7], s[0:1], 0x10
	s_bfe_u32 s2, ttmp6, 0x4000c
	s_and_b32 s3, ttmp6, 15
	s_add_co_i32 s2, s2, 1
	s_getreg_b32 s8, hwreg(HW_REG_IB_STS2, 6, 4)
	s_mul_i32 s2, ttmp9, s2
	v_mov_b32_e32 v3, 0
	s_add_co_i32 s3, s3, s2
	s_cmp_eq_u32 s8, 0
	s_mov_b32 s2, exec_lo
	s_cselect_b32 s15, ttmp9, s3
	s_mov_b32 s3, 0
	v_lshl_or_b32 v2, s15, 9, v0
	s_wait_kmcnt 0x0
	s_delay_alu instid0(VALU_DEP_1)
	v_cmpx_gt_i64_e64 s[4:5], v[2:3]
	s_cbranch_execz .LBB8_3
; %bb.1:
	s_clause 0x3
	s_load_b32 s16, s[0:1], 0x48
	s_load_b96 s[12:14], s[0:1], 0x38
	s_load_b32 s2, s[0:1], 0x20
	s_load_b128 s[8:11], s[0:1], 0x28
	v_mov_b64_e32 v[4:5], v[2:3]
	s_wait_kmcnt 0x0
	s_lshl_b32 s1, s16, 9
	s_delay_alu instid0(SALU_CYCLE_1) | instskip(SKIP_2) | instid1(VALU_DEP_1)
	v_dual_lshlrev_b32 v1, 1, v0 :: v_dual_add_nc_u32 v0, s1, v2
	s_cmp_eq_u32 s14, 1
	s_cselect_b32 vcc_lo, -1, 0
	v_lshl_or_b32 v2, s15, 10, v1
	s_lshl_b32 s14, s16, 10
	s_mov_b32 s15, s3
.LBB8_2:                                ; =>This Inner Loop Header: Depth=1
	s_delay_alu instid0(VALU_DEP_1)
	v_lshl_add_u64 v[6:7], v[2:3], 3, s[10:11]
	v_lshl_add_u64 v[4:5], v[4:5], 3, s[8:9]
	v_add_nc_u32_e32 v2, s14, v2
	global_load_b128 v[6:9], v[6:7], off
	global_load_b64 v[10:11], v[4:5], off
	s_wait_loadcnt 0x1
	s_wait_xcnt 0x0
	v_sub_nc_u64_e64 v[4:5], v[6:7], s[2:3]
	v_sub_nc_u64_e64 v[6:7], v[8:9], s[2:3]
	s_delay_alu instid0(VALU_DEP_1) | instskip(NEXT) | instid1(VALU_DEP_2)
	v_dual_mov_b32 v1, v3 :: v_dual_cndmask_b32 v9, v5, v7, vcc_lo
	v_dual_cndmask_b32 v8, v4, v6 :: v_dual_cndmask_b32 v7, v7, v5
	v_cndmask_b32_e32 v6, v6, v4, vcc_lo
	s_delay_alu instid0(VALU_DEP_3) | instskip(SKIP_1) | instid1(VALU_DEP_4)
	v_cmp_le_u64_e64 s0, s[4:5], v[0:1]
	v_mov_b64_e32 v[4:5], v[0:1]
	v_mul_u64_e32 v[8:9], s[6:7], v[8:9]
	v_add_nc_u32_e32 v0, s1, v0
	s_or_b32 s15, s0, s15
	s_delay_alu instid0(VALU_DEP_2) | instskip(NEXT) | instid1(VALU_DEP_1)
	v_lshl_add_u64 v[8:9], v[8:9], 3, s[12:13]
	v_lshl_add_u64 v[6:7], v[6:7], 3, v[8:9]
	s_wait_loadcnt 0x0
	global_store_b64 v[6:7], v[10:11], off
	s_wait_xcnt 0x0
	s_and_not1_b32 exec_lo, exec_lo, s15
	s_cbranch_execnz .LBB8_2
.LBB8_3:
	s_endpgm
	.section	.rodata,"a",@progbits
	.p2align	6, 0x0
	.amdhsa_kernel _ZN9rocsparseL20coo2dense_aos_kernelILj512El21rocsparse_complex_numIfEEEvT0_S3_ll21rocsparse_index_base_PKT1_PKS3_PS5_16rocsparse_order_
		.amdhsa_group_segment_fixed_size 0
		.amdhsa_private_segment_fixed_size 0
		.amdhsa_kernarg_size 328
		.amdhsa_user_sgpr_count 2
		.amdhsa_user_sgpr_dispatch_ptr 0
		.amdhsa_user_sgpr_queue_ptr 0
		.amdhsa_user_sgpr_kernarg_segment_ptr 1
		.amdhsa_user_sgpr_dispatch_id 0
		.amdhsa_user_sgpr_kernarg_preload_length 0
		.amdhsa_user_sgpr_kernarg_preload_offset 0
		.amdhsa_user_sgpr_private_segment_size 0
		.amdhsa_wavefront_size32 1
		.amdhsa_uses_dynamic_stack 0
		.amdhsa_enable_private_segment 0
		.amdhsa_system_sgpr_workgroup_id_x 1
		.amdhsa_system_sgpr_workgroup_id_y 0
		.amdhsa_system_sgpr_workgroup_id_z 0
		.amdhsa_system_sgpr_workgroup_info 0
		.amdhsa_system_vgpr_workitem_id 0
		.amdhsa_next_free_vgpr 12
		.amdhsa_next_free_sgpr 17
		.amdhsa_named_barrier_count 0
		.amdhsa_reserve_vcc 1
		.amdhsa_float_round_mode_32 0
		.amdhsa_float_round_mode_16_64 0
		.amdhsa_float_denorm_mode_32 3
		.amdhsa_float_denorm_mode_16_64 3
		.amdhsa_fp16_overflow 0
		.amdhsa_memory_ordered 1
		.amdhsa_forward_progress 1
		.amdhsa_inst_pref_size 3
		.amdhsa_round_robin_scheduling 0
		.amdhsa_exception_fp_ieee_invalid_op 0
		.amdhsa_exception_fp_denorm_src 0
		.amdhsa_exception_fp_ieee_div_zero 0
		.amdhsa_exception_fp_ieee_overflow 0
		.amdhsa_exception_fp_ieee_underflow 0
		.amdhsa_exception_fp_ieee_inexact 0
		.amdhsa_exception_int_div_zero 0
	.end_amdhsa_kernel
	.section	.text._ZN9rocsparseL20coo2dense_aos_kernelILj512El21rocsparse_complex_numIfEEEvT0_S3_ll21rocsparse_index_base_PKT1_PKS3_PS5_16rocsparse_order_,"axG",@progbits,_ZN9rocsparseL20coo2dense_aos_kernelILj512El21rocsparse_complex_numIfEEEvT0_S3_ll21rocsparse_index_base_PKT1_PKS3_PS5_16rocsparse_order_,comdat
.Lfunc_end8:
	.size	_ZN9rocsparseL20coo2dense_aos_kernelILj512El21rocsparse_complex_numIfEEEvT0_S3_ll21rocsparse_index_base_PKT1_PKS3_PS5_16rocsparse_order_, .Lfunc_end8-_ZN9rocsparseL20coo2dense_aos_kernelILj512El21rocsparse_complex_numIfEEEvT0_S3_ll21rocsparse_index_base_PKT1_PKS3_PS5_16rocsparse_order_
                                        ; -- End function
	.set _ZN9rocsparseL20coo2dense_aos_kernelILj512El21rocsparse_complex_numIfEEEvT0_S3_ll21rocsparse_index_base_PKT1_PKS3_PS5_16rocsparse_order_.num_vgpr, 12
	.set _ZN9rocsparseL20coo2dense_aos_kernelILj512El21rocsparse_complex_numIfEEEvT0_S3_ll21rocsparse_index_base_PKT1_PKS3_PS5_16rocsparse_order_.num_agpr, 0
	.set _ZN9rocsparseL20coo2dense_aos_kernelILj512El21rocsparse_complex_numIfEEEvT0_S3_ll21rocsparse_index_base_PKT1_PKS3_PS5_16rocsparse_order_.numbered_sgpr, 17
	.set _ZN9rocsparseL20coo2dense_aos_kernelILj512El21rocsparse_complex_numIfEEEvT0_S3_ll21rocsparse_index_base_PKT1_PKS3_PS5_16rocsparse_order_.num_named_barrier, 0
	.set _ZN9rocsparseL20coo2dense_aos_kernelILj512El21rocsparse_complex_numIfEEEvT0_S3_ll21rocsparse_index_base_PKT1_PKS3_PS5_16rocsparse_order_.private_seg_size, 0
	.set _ZN9rocsparseL20coo2dense_aos_kernelILj512El21rocsparse_complex_numIfEEEvT0_S3_ll21rocsparse_index_base_PKT1_PKS3_PS5_16rocsparse_order_.uses_vcc, 1
	.set _ZN9rocsparseL20coo2dense_aos_kernelILj512El21rocsparse_complex_numIfEEEvT0_S3_ll21rocsparse_index_base_PKT1_PKS3_PS5_16rocsparse_order_.uses_flat_scratch, 0
	.set _ZN9rocsparseL20coo2dense_aos_kernelILj512El21rocsparse_complex_numIfEEEvT0_S3_ll21rocsparse_index_base_PKT1_PKS3_PS5_16rocsparse_order_.has_dyn_sized_stack, 0
	.set _ZN9rocsparseL20coo2dense_aos_kernelILj512El21rocsparse_complex_numIfEEEvT0_S3_ll21rocsparse_index_base_PKT1_PKS3_PS5_16rocsparse_order_.has_recursion, 0
	.set _ZN9rocsparseL20coo2dense_aos_kernelILj512El21rocsparse_complex_numIfEEEvT0_S3_ll21rocsparse_index_base_PKT1_PKS3_PS5_16rocsparse_order_.has_indirect_call, 0
	.section	.AMDGPU.csdata,"",@progbits
; Kernel info:
; codeLenInByte = 352
; TotalNumSgprs: 19
; NumVgprs: 12
; ScratchSize: 0
; MemoryBound: 0
; FloatMode: 240
; IeeeMode: 1
; LDSByteSize: 0 bytes/workgroup (compile time only)
; SGPRBlocks: 0
; VGPRBlocks: 0
; NumSGPRsForWavesPerEU: 19
; NumVGPRsForWavesPerEU: 12
; NamedBarCnt: 0
; Occupancy: 16
; WaveLimiterHint : 1
; COMPUTE_PGM_RSRC2:SCRATCH_EN: 0
; COMPUTE_PGM_RSRC2:USER_SGPR: 2
; COMPUTE_PGM_RSRC2:TRAP_HANDLER: 0
; COMPUTE_PGM_RSRC2:TGID_X_EN: 1
; COMPUTE_PGM_RSRC2:TGID_Y_EN: 0
; COMPUTE_PGM_RSRC2:TGID_Z_EN: 0
; COMPUTE_PGM_RSRC2:TIDIG_COMP_CNT: 0
	.section	.text._ZN9rocsparseL20coo2dense_aos_kernelILj512El21rocsparse_complex_numIdEEEvT0_S3_ll21rocsparse_index_base_PKT1_PKS3_PS5_16rocsparse_order_,"axG",@progbits,_ZN9rocsparseL20coo2dense_aos_kernelILj512El21rocsparse_complex_numIdEEEvT0_S3_ll21rocsparse_index_base_PKT1_PKS3_PS5_16rocsparse_order_,comdat
	.globl	_ZN9rocsparseL20coo2dense_aos_kernelILj512El21rocsparse_complex_numIdEEEvT0_S3_ll21rocsparse_index_base_PKT1_PKS3_PS5_16rocsparse_order_ ; -- Begin function _ZN9rocsparseL20coo2dense_aos_kernelILj512El21rocsparse_complex_numIdEEEvT0_S3_ll21rocsparse_index_base_PKT1_PKS3_PS5_16rocsparse_order_
	.p2align	8
	.type	_ZN9rocsparseL20coo2dense_aos_kernelILj512El21rocsparse_complex_numIdEEEvT0_S3_ll21rocsparse_index_base_PKT1_PKS3_PS5_16rocsparse_order_,@function
_ZN9rocsparseL20coo2dense_aos_kernelILj512El21rocsparse_complex_numIdEEEvT0_S3_ll21rocsparse_index_base_PKT1_PKS3_PS5_16rocsparse_order_: ; @_ZN9rocsparseL20coo2dense_aos_kernelILj512El21rocsparse_complex_numIdEEEvT0_S3_ll21rocsparse_index_base_PKT1_PKS3_PS5_16rocsparse_order_
; %bb.0:
	s_load_b128 s[4:7], s[0:1], 0x10
	s_bfe_u32 s2, ttmp6, 0x4000c
	s_and_b32 s3, ttmp6, 15
	s_add_co_i32 s2, s2, 1
	s_getreg_b32 s8, hwreg(HW_REG_IB_STS2, 6, 4)
	s_mul_i32 s2, ttmp9, s2
	v_mov_b32_e32 v3, 0
	s_add_co_i32 s3, s3, s2
	s_cmp_eq_u32 s8, 0
	s_mov_b32 s2, exec_lo
	s_cselect_b32 s15, ttmp9, s3
	s_mov_b32 s3, 0
	v_lshl_or_b32 v2, s15, 9, v0
	s_wait_kmcnt 0x0
	s_delay_alu instid0(VALU_DEP_1)
	v_cmpx_gt_i64_e64 s[4:5], v[2:3]
	s_cbranch_execz .LBB9_3
; %bb.1:
	s_clause 0x3
	s_load_b32 s16, s[0:1], 0x48
	s_load_b96 s[12:14], s[0:1], 0x38
	s_load_b32 s2, s[0:1], 0x20
	s_load_b128 s[8:11], s[0:1], 0x28
	v_mov_b64_e32 v[4:5], v[2:3]
	s_wait_kmcnt 0x0
	s_lshl_b32 s1, s16, 9
	s_delay_alu instid0(SALU_CYCLE_1) | instskip(SKIP_2) | instid1(VALU_DEP_1)
	v_dual_lshlrev_b32 v1, 1, v0 :: v_dual_add_nc_u32 v0, s1, v2
	s_cmp_eq_u32 s14, 1
	s_cselect_b32 vcc_lo, -1, 0
	v_lshl_or_b32 v2, s15, 10, v1
	s_lshl_b32 s14, s16, 10
	s_mov_b32 s15, s3
.LBB9_2:                                ; =>This Inner Loop Header: Depth=1
	s_delay_alu instid0(VALU_DEP_1)
	v_lshl_add_u64 v[6:7], v[2:3], 3, s[10:11]
	v_lshl_add_u64 v[4:5], v[4:5], 4, s[8:9]
	v_add_nc_u32_e32 v2, s14, v2
	global_load_b128 v[6:9], v[6:7], off
	global_load_b128 v[10:13], v[4:5], off
	s_wait_loadcnt 0x1
	s_wait_xcnt 0x0
	v_sub_nc_u64_e64 v[4:5], v[6:7], s[2:3]
	v_sub_nc_u64_e64 v[6:7], v[8:9], s[2:3]
	s_delay_alu instid0(VALU_DEP_1) | instskip(NEXT) | instid1(VALU_DEP_2)
	v_dual_mov_b32 v1, v3 :: v_dual_cndmask_b32 v9, v5, v7, vcc_lo
	v_dual_cndmask_b32 v8, v4, v6 :: v_dual_cndmask_b32 v7, v7, v5
	v_cndmask_b32_e32 v6, v6, v4, vcc_lo
	s_delay_alu instid0(VALU_DEP_3) | instskip(SKIP_1) | instid1(VALU_DEP_4)
	v_cmp_le_u64_e64 s0, s[4:5], v[0:1]
	v_mov_b64_e32 v[4:5], v[0:1]
	v_mul_u64_e32 v[8:9], s[6:7], v[8:9]
	v_add_nc_u32_e32 v0, s1, v0
	s_or_b32 s15, s0, s15
	s_delay_alu instid0(VALU_DEP_2) | instskip(NEXT) | instid1(VALU_DEP_1)
	v_lshl_add_u64 v[8:9], v[8:9], 4, s[12:13]
	v_lshl_add_u64 v[6:7], v[6:7], 4, v[8:9]
	s_wait_loadcnt 0x0
	global_store_b128 v[6:7], v[10:13], off
	s_wait_xcnt 0x0
	s_and_not1_b32 exec_lo, exec_lo, s15
	s_cbranch_execnz .LBB9_2
.LBB9_3:
	s_endpgm
	.section	.rodata,"a",@progbits
	.p2align	6, 0x0
	.amdhsa_kernel _ZN9rocsparseL20coo2dense_aos_kernelILj512El21rocsparse_complex_numIdEEEvT0_S3_ll21rocsparse_index_base_PKT1_PKS3_PS5_16rocsparse_order_
		.amdhsa_group_segment_fixed_size 0
		.amdhsa_private_segment_fixed_size 0
		.amdhsa_kernarg_size 328
		.amdhsa_user_sgpr_count 2
		.amdhsa_user_sgpr_dispatch_ptr 0
		.amdhsa_user_sgpr_queue_ptr 0
		.amdhsa_user_sgpr_kernarg_segment_ptr 1
		.amdhsa_user_sgpr_dispatch_id 0
		.amdhsa_user_sgpr_kernarg_preload_length 0
		.amdhsa_user_sgpr_kernarg_preload_offset 0
		.amdhsa_user_sgpr_private_segment_size 0
		.amdhsa_wavefront_size32 1
		.amdhsa_uses_dynamic_stack 0
		.amdhsa_enable_private_segment 0
		.amdhsa_system_sgpr_workgroup_id_x 1
		.amdhsa_system_sgpr_workgroup_id_y 0
		.amdhsa_system_sgpr_workgroup_id_z 0
		.amdhsa_system_sgpr_workgroup_info 0
		.amdhsa_system_vgpr_workitem_id 0
		.amdhsa_next_free_vgpr 14
		.amdhsa_next_free_sgpr 17
		.amdhsa_named_barrier_count 0
		.amdhsa_reserve_vcc 1
		.amdhsa_float_round_mode_32 0
		.amdhsa_float_round_mode_16_64 0
		.amdhsa_float_denorm_mode_32 3
		.amdhsa_float_denorm_mode_16_64 3
		.amdhsa_fp16_overflow 0
		.amdhsa_memory_ordered 1
		.amdhsa_forward_progress 1
		.amdhsa_inst_pref_size 3
		.amdhsa_round_robin_scheduling 0
		.amdhsa_exception_fp_ieee_invalid_op 0
		.amdhsa_exception_fp_denorm_src 0
		.amdhsa_exception_fp_ieee_div_zero 0
		.amdhsa_exception_fp_ieee_overflow 0
		.amdhsa_exception_fp_ieee_underflow 0
		.amdhsa_exception_fp_ieee_inexact 0
		.amdhsa_exception_int_div_zero 0
	.end_amdhsa_kernel
	.section	.text._ZN9rocsparseL20coo2dense_aos_kernelILj512El21rocsparse_complex_numIdEEEvT0_S3_ll21rocsparse_index_base_PKT1_PKS3_PS5_16rocsparse_order_,"axG",@progbits,_ZN9rocsparseL20coo2dense_aos_kernelILj512El21rocsparse_complex_numIdEEEvT0_S3_ll21rocsparse_index_base_PKT1_PKS3_PS5_16rocsparse_order_,comdat
.Lfunc_end9:
	.size	_ZN9rocsparseL20coo2dense_aos_kernelILj512El21rocsparse_complex_numIdEEEvT0_S3_ll21rocsparse_index_base_PKT1_PKS3_PS5_16rocsparse_order_, .Lfunc_end9-_ZN9rocsparseL20coo2dense_aos_kernelILj512El21rocsparse_complex_numIdEEEvT0_S3_ll21rocsparse_index_base_PKT1_PKS3_PS5_16rocsparse_order_
                                        ; -- End function
	.set _ZN9rocsparseL20coo2dense_aos_kernelILj512El21rocsparse_complex_numIdEEEvT0_S3_ll21rocsparse_index_base_PKT1_PKS3_PS5_16rocsparse_order_.num_vgpr, 14
	.set _ZN9rocsparseL20coo2dense_aos_kernelILj512El21rocsparse_complex_numIdEEEvT0_S3_ll21rocsparse_index_base_PKT1_PKS3_PS5_16rocsparse_order_.num_agpr, 0
	.set _ZN9rocsparseL20coo2dense_aos_kernelILj512El21rocsparse_complex_numIdEEEvT0_S3_ll21rocsparse_index_base_PKT1_PKS3_PS5_16rocsparse_order_.numbered_sgpr, 17
	.set _ZN9rocsparseL20coo2dense_aos_kernelILj512El21rocsparse_complex_numIdEEEvT0_S3_ll21rocsparse_index_base_PKT1_PKS3_PS5_16rocsparse_order_.num_named_barrier, 0
	.set _ZN9rocsparseL20coo2dense_aos_kernelILj512El21rocsparse_complex_numIdEEEvT0_S3_ll21rocsparse_index_base_PKT1_PKS3_PS5_16rocsparse_order_.private_seg_size, 0
	.set _ZN9rocsparseL20coo2dense_aos_kernelILj512El21rocsparse_complex_numIdEEEvT0_S3_ll21rocsparse_index_base_PKT1_PKS3_PS5_16rocsparse_order_.uses_vcc, 1
	.set _ZN9rocsparseL20coo2dense_aos_kernelILj512El21rocsparse_complex_numIdEEEvT0_S3_ll21rocsparse_index_base_PKT1_PKS3_PS5_16rocsparse_order_.uses_flat_scratch, 0
	.set _ZN9rocsparseL20coo2dense_aos_kernelILj512El21rocsparse_complex_numIdEEEvT0_S3_ll21rocsparse_index_base_PKT1_PKS3_PS5_16rocsparse_order_.has_dyn_sized_stack, 0
	.set _ZN9rocsparseL20coo2dense_aos_kernelILj512El21rocsparse_complex_numIdEEEvT0_S3_ll21rocsparse_index_base_PKT1_PKS3_PS5_16rocsparse_order_.has_recursion, 0
	.set _ZN9rocsparseL20coo2dense_aos_kernelILj512El21rocsparse_complex_numIdEEEvT0_S3_ll21rocsparse_index_base_PKT1_PKS3_PS5_16rocsparse_order_.has_indirect_call, 0
	.section	.AMDGPU.csdata,"",@progbits
; Kernel info:
; codeLenInByte = 352
; TotalNumSgprs: 19
; NumVgprs: 14
; ScratchSize: 0
; MemoryBound: 0
; FloatMode: 240
; IeeeMode: 1
; LDSByteSize: 0 bytes/workgroup (compile time only)
; SGPRBlocks: 0
; VGPRBlocks: 0
; NumSGPRsForWavesPerEU: 19
; NumVGPRsForWavesPerEU: 14
; NamedBarCnt: 0
; Occupancy: 16
; WaveLimiterHint : 1
; COMPUTE_PGM_RSRC2:SCRATCH_EN: 0
; COMPUTE_PGM_RSRC2:USER_SGPR: 2
; COMPUTE_PGM_RSRC2:TRAP_HANDLER: 0
; COMPUTE_PGM_RSRC2:TGID_X_EN: 1
; COMPUTE_PGM_RSRC2:TGID_Y_EN: 0
; COMPUTE_PGM_RSRC2:TGID_Z_EN: 0
; COMPUTE_PGM_RSRC2:TIDIG_COMP_CNT: 0
	.section	.AMDGPU.gpr_maximums,"",@progbits
	.set amdgpu.max_num_vgpr, 0
	.set amdgpu.max_num_agpr, 0
	.set amdgpu.max_num_sgpr, 0
	.section	.AMDGPU.csdata,"",@progbits
	.type	__hip_cuid_6ebeff980e0bf7c7,@object ; @__hip_cuid_6ebeff980e0bf7c7
	.section	.bss,"aw",@nobits
	.globl	__hip_cuid_6ebeff980e0bf7c7
__hip_cuid_6ebeff980e0bf7c7:
	.byte	0                               ; 0x0
	.size	__hip_cuid_6ebeff980e0bf7c7, 1

	.ident	"AMD clang version 22.0.0git (https://github.com/RadeonOpenCompute/llvm-project roc-7.2.4 26084 f58b06dce1f9c15707c5f808fd002e18c2accf7e)"
	.section	".note.GNU-stack","",@progbits
	.addrsig
	.addrsig_sym __hip_cuid_6ebeff980e0bf7c7
	.amdgpu_metadata
---
amdhsa.kernels:
  - .args:
      - .offset:         0
        .size:           4
        .value_kind:     by_value
      - .offset:         4
        .size:           4
        .value_kind:     by_value
      - .offset:         8
        .size:           8
        .value_kind:     by_value
      - .offset:         16
        .size:           8
        .value_kind:     by_value
      - .offset:         24
        .size:           4
        .value_kind:     by_value
      - .address_space:  global
        .offset:         32
        .size:           8
        .value_kind:     global_buffer
      - .address_space:  global
        .offset:         40
        .size:           8
        .value_kind:     global_buffer
      - .address_space:  global
        .offset:         48
        .size:           8
        .value_kind:     global_buffer
      - .offset:         56
        .size:           4
        .value_kind:     by_value
      - .offset:         64
        .size:           4
        .value_kind:     hidden_block_count_x
      - .offset:         68
        .size:           4
        .value_kind:     hidden_block_count_y
      - .offset:         72
        .size:           4
        .value_kind:     hidden_block_count_z
      - .offset:         76
        .size:           2
        .value_kind:     hidden_group_size_x
      - .offset:         78
        .size:           2
        .value_kind:     hidden_group_size_y
      - .offset:         80
        .size:           2
        .value_kind:     hidden_group_size_z
      - .offset:         82
        .size:           2
        .value_kind:     hidden_remainder_x
      - .offset:         84
        .size:           2
        .value_kind:     hidden_remainder_y
      - .offset:         86
        .size:           2
        .value_kind:     hidden_remainder_z
      - .offset:         104
        .size:           8
        .value_kind:     hidden_global_offset_x
      - .offset:         112
        .size:           8
        .value_kind:     hidden_global_offset_y
      - .offset:         120
        .size:           8
        .value_kind:     hidden_global_offset_z
      - .offset:         128
        .size:           2
        .value_kind:     hidden_grid_dims
    .group_segment_fixed_size: 0
    .kernarg_segment_align: 8
    .kernarg_segment_size: 320
    .language:       OpenCL C
    .language_version:
      - 2
      - 0
    .max_flat_workgroup_size: 512
    .name:           _ZN9rocsparseL20coo2dense_aos_kernelILj512EiDF16_EEvT0_S1_ll21rocsparse_index_base_PKT1_PKS1_PS3_16rocsparse_order_
    .private_segment_fixed_size: 0
    .sgpr_count:     19
    .sgpr_spill_count: 0
    .symbol:         _ZN9rocsparseL20coo2dense_aos_kernelILj512EiDF16_EEvT0_S1_ll21rocsparse_index_base_PKT1_PKS1_PS3_16rocsparse_order_.kd
    .uniform_work_group_size: 1
    .uses_dynamic_stack: false
    .vgpr_count:     11
    .vgpr_spill_count: 0
    .wavefront_size: 32
  - .args:
      - .offset:         0
        .size:           4
        .value_kind:     by_value
      - .offset:         4
        .size:           4
        .value_kind:     by_value
      - .offset:         8
        .size:           8
        .value_kind:     by_value
      - .offset:         16
        .size:           8
        .value_kind:     by_value
      - .offset:         24
        .size:           4
        .value_kind:     by_value
      - .address_space:  global
        .offset:         32
        .size:           8
        .value_kind:     global_buffer
      - .address_space:  global
        .offset:         40
        .size:           8
        .value_kind:     global_buffer
      - .address_space:  global
        .offset:         48
        .size:           8
        .value_kind:     global_buffer
      - .offset:         56
        .size:           4
        .value_kind:     by_value
      - .offset:         64
        .size:           4
        .value_kind:     hidden_block_count_x
      - .offset:         68
        .size:           4
        .value_kind:     hidden_block_count_y
      - .offset:         72
        .size:           4
        .value_kind:     hidden_block_count_z
      - .offset:         76
        .size:           2
        .value_kind:     hidden_group_size_x
      - .offset:         78
        .size:           2
        .value_kind:     hidden_group_size_y
      - .offset:         80
        .size:           2
        .value_kind:     hidden_group_size_z
      - .offset:         82
        .size:           2
        .value_kind:     hidden_remainder_x
      - .offset:         84
        .size:           2
        .value_kind:     hidden_remainder_y
      - .offset:         86
        .size:           2
        .value_kind:     hidden_remainder_z
      - .offset:         104
        .size:           8
        .value_kind:     hidden_global_offset_x
      - .offset:         112
        .size:           8
        .value_kind:     hidden_global_offset_y
      - .offset:         120
        .size:           8
        .value_kind:     hidden_global_offset_z
      - .offset:         128
        .size:           2
        .value_kind:     hidden_grid_dims
    .group_segment_fixed_size: 0
    .kernarg_segment_align: 8
    .kernarg_segment_size: 320
    .language:       OpenCL C
    .language_version:
      - 2
      - 0
    .max_flat_workgroup_size: 512
    .name:           _ZN9rocsparseL20coo2dense_aos_kernelILj512EifEEvT0_S1_ll21rocsparse_index_base_PKT1_PKS1_PS3_16rocsparse_order_
    .private_segment_fixed_size: 0
    .sgpr_count:     19
    .sgpr_spill_count: 0
    .symbol:         _ZN9rocsparseL20coo2dense_aos_kernelILj512EifEEvT0_S1_ll21rocsparse_index_base_PKT1_PKS1_PS3_16rocsparse_order_.kd
    .uniform_work_group_size: 1
    .uses_dynamic_stack: false
    .vgpr_count:     11
    .vgpr_spill_count: 0
    .wavefront_size: 32
  - .args:
      - .offset:         0
        .size:           4
        .value_kind:     by_value
      - .offset:         4
        .size:           4
        .value_kind:     by_value
      - .offset:         8
        .size:           8
        .value_kind:     by_value
      - .offset:         16
        .size:           8
        .value_kind:     by_value
      - .offset:         24
        .size:           4
        .value_kind:     by_value
      - .address_space:  global
        .offset:         32
        .size:           8
        .value_kind:     global_buffer
      - .address_space:  global
        .offset:         40
        .size:           8
        .value_kind:     global_buffer
      - .address_space:  global
        .offset:         48
        .size:           8
        .value_kind:     global_buffer
      - .offset:         56
        .size:           4
        .value_kind:     by_value
      - .offset:         64
        .size:           4
        .value_kind:     hidden_block_count_x
      - .offset:         68
        .size:           4
        .value_kind:     hidden_block_count_y
      - .offset:         72
        .size:           4
        .value_kind:     hidden_block_count_z
      - .offset:         76
        .size:           2
        .value_kind:     hidden_group_size_x
      - .offset:         78
        .size:           2
        .value_kind:     hidden_group_size_y
      - .offset:         80
        .size:           2
        .value_kind:     hidden_group_size_z
      - .offset:         82
        .size:           2
        .value_kind:     hidden_remainder_x
      - .offset:         84
        .size:           2
        .value_kind:     hidden_remainder_y
      - .offset:         86
        .size:           2
        .value_kind:     hidden_remainder_z
      - .offset:         104
        .size:           8
        .value_kind:     hidden_global_offset_x
      - .offset:         112
        .size:           8
        .value_kind:     hidden_global_offset_y
      - .offset:         120
        .size:           8
        .value_kind:     hidden_global_offset_z
      - .offset:         128
        .size:           2
        .value_kind:     hidden_grid_dims
    .group_segment_fixed_size: 0
    .kernarg_segment_align: 8
    .kernarg_segment_size: 320
    .language:       OpenCL C
    .language_version:
      - 2
      - 0
    .max_flat_workgroup_size: 512
    .name:           _ZN9rocsparseL20coo2dense_aos_kernelILj512EidEEvT0_S1_ll21rocsparse_index_base_PKT1_PKS1_PS3_16rocsparse_order_
    .private_segment_fixed_size: 0
    .sgpr_count:     19
    .sgpr_spill_count: 0
    .symbol:         _ZN9rocsparseL20coo2dense_aos_kernelILj512EidEEvT0_S1_ll21rocsparse_index_base_PKT1_PKS1_PS3_16rocsparse_order_.kd
    .uniform_work_group_size: 1
    .uses_dynamic_stack: false
    .vgpr_count:     12
    .vgpr_spill_count: 0
    .wavefront_size: 32
  - .args:
      - .offset:         0
        .size:           4
        .value_kind:     by_value
      - .offset:         4
        .size:           4
        .value_kind:     by_value
      - .offset:         8
        .size:           8
        .value_kind:     by_value
      - .offset:         16
        .size:           8
        .value_kind:     by_value
      - .offset:         24
        .size:           4
        .value_kind:     by_value
      - .address_space:  global
        .offset:         32
        .size:           8
        .value_kind:     global_buffer
      - .address_space:  global
        .offset:         40
        .size:           8
        .value_kind:     global_buffer
      - .address_space:  global
        .offset:         48
        .size:           8
        .value_kind:     global_buffer
      - .offset:         56
        .size:           4
        .value_kind:     by_value
      - .offset:         64
        .size:           4
        .value_kind:     hidden_block_count_x
      - .offset:         68
        .size:           4
        .value_kind:     hidden_block_count_y
      - .offset:         72
        .size:           4
        .value_kind:     hidden_block_count_z
      - .offset:         76
        .size:           2
        .value_kind:     hidden_group_size_x
      - .offset:         78
        .size:           2
        .value_kind:     hidden_group_size_y
      - .offset:         80
        .size:           2
        .value_kind:     hidden_group_size_z
      - .offset:         82
        .size:           2
        .value_kind:     hidden_remainder_x
      - .offset:         84
        .size:           2
        .value_kind:     hidden_remainder_y
      - .offset:         86
        .size:           2
        .value_kind:     hidden_remainder_z
      - .offset:         104
        .size:           8
        .value_kind:     hidden_global_offset_x
      - .offset:         112
        .size:           8
        .value_kind:     hidden_global_offset_y
      - .offset:         120
        .size:           8
        .value_kind:     hidden_global_offset_z
      - .offset:         128
        .size:           2
        .value_kind:     hidden_grid_dims
    .group_segment_fixed_size: 0
    .kernarg_segment_align: 8
    .kernarg_segment_size: 320
    .language:       OpenCL C
    .language_version:
      - 2
      - 0
    .max_flat_workgroup_size: 512
    .name:           _ZN9rocsparseL20coo2dense_aos_kernelILj512Ei21rocsparse_complex_numIfEEEvT0_S3_ll21rocsparse_index_base_PKT1_PKS3_PS5_16rocsparse_order_
    .private_segment_fixed_size: 0
    .sgpr_count:     19
    .sgpr_spill_count: 0
    .symbol:         _ZN9rocsparseL20coo2dense_aos_kernelILj512Ei21rocsparse_complex_numIfEEEvT0_S3_ll21rocsparse_index_base_PKT1_PKS3_PS5_16rocsparse_order_.kd
    .uniform_work_group_size: 1
    .uses_dynamic_stack: false
    .vgpr_count:     12
    .vgpr_spill_count: 0
    .wavefront_size: 32
  - .args:
      - .offset:         0
        .size:           4
        .value_kind:     by_value
      - .offset:         4
        .size:           4
        .value_kind:     by_value
      - .offset:         8
        .size:           8
        .value_kind:     by_value
      - .offset:         16
        .size:           8
        .value_kind:     by_value
      - .offset:         24
        .size:           4
        .value_kind:     by_value
      - .address_space:  global
        .offset:         32
        .size:           8
        .value_kind:     global_buffer
      - .address_space:  global
        .offset:         40
        .size:           8
        .value_kind:     global_buffer
      - .address_space:  global
        .offset:         48
        .size:           8
        .value_kind:     global_buffer
      - .offset:         56
        .size:           4
        .value_kind:     by_value
      - .offset:         64
        .size:           4
        .value_kind:     hidden_block_count_x
      - .offset:         68
        .size:           4
        .value_kind:     hidden_block_count_y
      - .offset:         72
        .size:           4
        .value_kind:     hidden_block_count_z
      - .offset:         76
        .size:           2
        .value_kind:     hidden_group_size_x
      - .offset:         78
        .size:           2
        .value_kind:     hidden_group_size_y
      - .offset:         80
        .size:           2
        .value_kind:     hidden_group_size_z
      - .offset:         82
        .size:           2
        .value_kind:     hidden_remainder_x
      - .offset:         84
        .size:           2
        .value_kind:     hidden_remainder_y
      - .offset:         86
        .size:           2
        .value_kind:     hidden_remainder_z
      - .offset:         104
        .size:           8
        .value_kind:     hidden_global_offset_x
      - .offset:         112
        .size:           8
        .value_kind:     hidden_global_offset_y
      - .offset:         120
        .size:           8
        .value_kind:     hidden_global_offset_z
      - .offset:         128
        .size:           2
        .value_kind:     hidden_grid_dims
    .group_segment_fixed_size: 0
    .kernarg_segment_align: 8
    .kernarg_segment_size: 320
    .language:       OpenCL C
    .language_version:
      - 2
      - 0
    .max_flat_workgroup_size: 512
    .name:           _ZN9rocsparseL20coo2dense_aos_kernelILj512Ei21rocsparse_complex_numIdEEEvT0_S3_ll21rocsparse_index_base_PKT1_PKS3_PS5_16rocsparse_order_
    .private_segment_fixed_size: 0
    .sgpr_count:     19
    .sgpr_spill_count: 0
    .symbol:         _ZN9rocsparseL20coo2dense_aos_kernelILj512Ei21rocsparse_complex_numIdEEEvT0_S3_ll21rocsparse_index_base_PKT1_PKS3_PS5_16rocsparse_order_.kd
    .uniform_work_group_size: 1
    .uses_dynamic_stack: false
    .vgpr_count:     14
    .vgpr_spill_count: 0
    .wavefront_size: 32
  - .args:
      - .offset:         0
        .size:           8
        .value_kind:     by_value
      - .offset:         8
        .size:           8
        .value_kind:     by_value
      - .offset:         16
        .size:           8
        .value_kind:     by_value
      - .offset:         24
        .size:           8
        .value_kind:     by_value
      - .offset:         32
        .size:           4
        .value_kind:     by_value
      - .address_space:  global
        .offset:         40
        .size:           8
        .value_kind:     global_buffer
      - .address_space:  global
        .offset:         48
        .size:           8
        .value_kind:     global_buffer
      - .address_space:  global
        .offset:         56
        .size:           8
        .value_kind:     global_buffer
      - .offset:         64
        .size:           4
        .value_kind:     by_value
      - .offset:         72
        .size:           4
        .value_kind:     hidden_block_count_x
      - .offset:         76
        .size:           4
        .value_kind:     hidden_block_count_y
      - .offset:         80
        .size:           4
        .value_kind:     hidden_block_count_z
      - .offset:         84
        .size:           2
        .value_kind:     hidden_group_size_x
      - .offset:         86
        .size:           2
        .value_kind:     hidden_group_size_y
      - .offset:         88
        .size:           2
        .value_kind:     hidden_group_size_z
      - .offset:         90
        .size:           2
        .value_kind:     hidden_remainder_x
      - .offset:         92
        .size:           2
        .value_kind:     hidden_remainder_y
      - .offset:         94
        .size:           2
        .value_kind:     hidden_remainder_z
      - .offset:         112
        .size:           8
        .value_kind:     hidden_global_offset_x
      - .offset:         120
        .size:           8
        .value_kind:     hidden_global_offset_y
      - .offset:         128
        .size:           8
        .value_kind:     hidden_global_offset_z
      - .offset:         136
        .size:           2
        .value_kind:     hidden_grid_dims
    .group_segment_fixed_size: 0
    .kernarg_segment_align: 8
    .kernarg_segment_size: 328
    .language:       OpenCL C
    .language_version:
      - 2
      - 0
    .max_flat_workgroup_size: 512
    .name:           _ZN9rocsparseL20coo2dense_aos_kernelILj512ElDF16_EEvT0_S1_ll21rocsparse_index_base_PKT1_PKS1_PS3_16rocsparse_order_
    .private_segment_fixed_size: 0
    .sgpr_count:     19
    .sgpr_spill_count: 0
    .symbol:         _ZN9rocsparseL20coo2dense_aos_kernelILj512ElDF16_EEvT0_S1_ll21rocsparse_index_base_PKT1_PKS1_PS3_16rocsparse_order_.kd
    .uniform_work_group_size: 1
    .uses_dynamic_stack: false
    .vgpr_count:     11
    .vgpr_spill_count: 0
    .wavefront_size: 32
  - .args:
      - .offset:         0
        .size:           8
        .value_kind:     by_value
      - .offset:         8
        .size:           8
        .value_kind:     by_value
      - .offset:         16
        .size:           8
        .value_kind:     by_value
      - .offset:         24
        .size:           8
        .value_kind:     by_value
      - .offset:         32
        .size:           4
        .value_kind:     by_value
      - .address_space:  global
        .offset:         40
        .size:           8
        .value_kind:     global_buffer
      - .address_space:  global
        .offset:         48
        .size:           8
        .value_kind:     global_buffer
      - .address_space:  global
        .offset:         56
        .size:           8
        .value_kind:     global_buffer
      - .offset:         64
        .size:           4
        .value_kind:     by_value
      - .offset:         72
        .size:           4
        .value_kind:     hidden_block_count_x
      - .offset:         76
        .size:           4
        .value_kind:     hidden_block_count_y
      - .offset:         80
        .size:           4
        .value_kind:     hidden_block_count_z
      - .offset:         84
        .size:           2
        .value_kind:     hidden_group_size_x
      - .offset:         86
        .size:           2
        .value_kind:     hidden_group_size_y
      - .offset:         88
        .size:           2
        .value_kind:     hidden_group_size_z
      - .offset:         90
        .size:           2
        .value_kind:     hidden_remainder_x
      - .offset:         92
        .size:           2
        .value_kind:     hidden_remainder_y
      - .offset:         94
        .size:           2
        .value_kind:     hidden_remainder_z
      - .offset:         112
        .size:           8
        .value_kind:     hidden_global_offset_x
      - .offset:         120
        .size:           8
        .value_kind:     hidden_global_offset_y
      - .offset:         128
        .size:           8
        .value_kind:     hidden_global_offset_z
      - .offset:         136
        .size:           2
        .value_kind:     hidden_grid_dims
    .group_segment_fixed_size: 0
    .kernarg_segment_align: 8
    .kernarg_segment_size: 328
    .language:       OpenCL C
    .language_version:
      - 2
      - 0
    .max_flat_workgroup_size: 512
    .name:           _ZN9rocsparseL20coo2dense_aos_kernelILj512ElfEEvT0_S1_ll21rocsparse_index_base_PKT1_PKS1_PS3_16rocsparse_order_
    .private_segment_fixed_size: 0
    .sgpr_count:     19
    .sgpr_spill_count: 0
    .symbol:         _ZN9rocsparseL20coo2dense_aos_kernelILj512ElfEEvT0_S1_ll21rocsparse_index_base_PKT1_PKS1_PS3_16rocsparse_order_.kd
    .uniform_work_group_size: 1
    .uses_dynamic_stack: false
    .vgpr_count:     11
    .vgpr_spill_count: 0
    .wavefront_size: 32
  - .args:
      - .offset:         0
        .size:           8
        .value_kind:     by_value
      - .offset:         8
        .size:           8
        .value_kind:     by_value
      - .offset:         16
        .size:           8
        .value_kind:     by_value
      - .offset:         24
        .size:           8
        .value_kind:     by_value
      - .offset:         32
        .size:           4
        .value_kind:     by_value
      - .address_space:  global
        .offset:         40
        .size:           8
        .value_kind:     global_buffer
      - .address_space:  global
        .offset:         48
        .size:           8
        .value_kind:     global_buffer
      - .address_space:  global
        .offset:         56
        .size:           8
        .value_kind:     global_buffer
      - .offset:         64
        .size:           4
        .value_kind:     by_value
      - .offset:         72
        .size:           4
        .value_kind:     hidden_block_count_x
      - .offset:         76
        .size:           4
        .value_kind:     hidden_block_count_y
      - .offset:         80
        .size:           4
        .value_kind:     hidden_block_count_z
      - .offset:         84
        .size:           2
        .value_kind:     hidden_group_size_x
      - .offset:         86
        .size:           2
        .value_kind:     hidden_group_size_y
      - .offset:         88
        .size:           2
        .value_kind:     hidden_group_size_z
      - .offset:         90
        .size:           2
        .value_kind:     hidden_remainder_x
      - .offset:         92
        .size:           2
        .value_kind:     hidden_remainder_y
      - .offset:         94
        .size:           2
        .value_kind:     hidden_remainder_z
      - .offset:         112
        .size:           8
        .value_kind:     hidden_global_offset_x
      - .offset:         120
        .size:           8
        .value_kind:     hidden_global_offset_y
      - .offset:         128
        .size:           8
        .value_kind:     hidden_global_offset_z
      - .offset:         136
        .size:           2
        .value_kind:     hidden_grid_dims
    .group_segment_fixed_size: 0
    .kernarg_segment_align: 8
    .kernarg_segment_size: 328
    .language:       OpenCL C
    .language_version:
      - 2
      - 0
    .max_flat_workgroup_size: 512
    .name:           _ZN9rocsparseL20coo2dense_aos_kernelILj512EldEEvT0_S1_ll21rocsparse_index_base_PKT1_PKS1_PS3_16rocsparse_order_
    .private_segment_fixed_size: 0
    .sgpr_count:     19
    .sgpr_spill_count: 0
    .symbol:         _ZN9rocsparseL20coo2dense_aos_kernelILj512EldEEvT0_S1_ll21rocsparse_index_base_PKT1_PKS1_PS3_16rocsparse_order_.kd
    .uniform_work_group_size: 1
    .uses_dynamic_stack: false
    .vgpr_count:     12
    .vgpr_spill_count: 0
    .wavefront_size: 32
  - .args:
      - .offset:         0
        .size:           8
        .value_kind:     by_value
      - .offset:         8
        .size:           8
        .value_kind:     by_value
      - .offset:         16
        .size:           8
        .value_kind:     by_value
      - .offset:         24
        .size:           8
        .value_kind:     by_value
      - .offset:         32
        .size:           4
        .value_kind:     by_value
      - .address_space:  global
        .offset:         40
        .size:           8
        .value_kind:     global_buffer
      - .address_space:  global
        .offset:         48
        .size:           8
        .value_kind:     global_buffer
      - .address_space:  global
        .offset:         56
        .size:           8
        .value_kind:     global_buffer
      - .offset:         64
        .size:           4
        .value_kind:     by_value
      - .offset:         72
        .size:           4
        .value_kind:     hidden_block_count_x
      - .offset:         76
        .size:           4
        .value_kind:     hidden_block_count_y
      - .offset:         80
        .size:           4
        .value_kind:     hidden_block_count_z
      - .offset:         84
        .size:           2
        .value_kind:     hidden_group_size_x
      - .offset:         86
        .size:           2
        .value_kind:     hidden_group_size_y
      - .offset:         88
        .size:           2
        .value_kind:     hidden_group_size_z
      - .offset:         90
        .size:           2
        .value_kind:     hidden_remainder_x
      - .offset:         92
        .size:           2
        .value_kind:     hidden_remainder_y
      - .offset:         94
        .size:           2
        .value_kind:     hidden_remainder_z
      - .offset:         112
        .size:           8
        .value_kind:     hidden_global_offset_x
      - .offset:         120
        .size:           8
        .value_kind:     hidden_global_offset_y
      - .offset:         128
        .size:           8
        .value_kind:     hidden_global_offset_z
      - .offset:         136
        .size:           2
        .value_kind:     hidden_grid_dims
    .group_segment_fixed_size: 0
    .kernarg_segment_align: 8
    .kernarg_segment_size: 328
    .language:       OpenCL C
    .language_version:
      - 2
      - 0
    .max_flat_workgroup_size: 512
    .name:           _ZN9rocsparseL20coo2dense_aos_kernelILj512El21rocsparse_complex_numIfEEEvT0_S3_ll21rocsparse_index_base_PKT1_PKS3_PS5_16rocsparse_order_
    .private_segment_fixed_size: 0
    .sgpr_count:     19
    .sgpr_spill_count: 0
    .symbol:         _ZN9rocsparseL20coo2dense_aos_kernelILj512El21rocsparse_complex_numIfEEEvT0_S3_ll21rocsparse_index_base_PKT1_PKS3_PS5_16rocsparse_order_.kd
    .uniform_work_group_size: 1
    .uses_dynamic_stack: false
    .vgpr_count:     12
    .vgpr_spill_count: 0
    .wavefront_size: 32
  - .args:
      - .offset:         0
        .size:           8
        .value_kind:     by_value
      - .offset:         8
        .size:           8
        .value_kind:     by_value
      - .offset:         16
        .size:           8
        .value_kind:     by_value
      - .offset:         24
        .size:           8
        .value_kind:     by_value
      - .offset:         32
        .size:           4
        .value_kind:     by_value
      - .address_space:  global
        .offset:         40
        .size:           8
        .value_kind:     global_buffer
      - .address_space:  global
        .offset:         48
        .size:           8
        .value_kind:     global_buffer
      - .address_space:  global
        .offset:         56
        .size:           8
        .value_kind:     global_buffer
      - .offset:         64
        .size:           4
        .value_kind:     by_value
      - .offset:         72
        .size:           4
        .value_kind:     hidden_block_count_x
      - .offset:         76
        .size:           4
        .value_kind:     hidden_block_count_y
      - .offset:         80
        .size:           4
        .value_kind:     hidden_block_count_z
      - .offset:         84
        .size:           2
        .value_kind:     hidden_group_size_x
      - .offset:         86
        .size:           2
        .value_kind:     hidden_group_size_y
      - .offset:         88
        .size:           2
        .value_kind:     hidden_group_size_z
      - .offset:         90
        .size:           2
        .value_kind:     hidden_remainder_x
      - .offset:         92
        .size:           2
        .value_kind:     hidden_remainder_y
      - .offset:         94
        .size:           2
        .value_kind:     hidden_remainder_z
      - .offset:         112
        .size:           8
        .value_kind:     hidden_global_offset_x
      - .offset:         120
        .size:           8
        .value_kind:     hidden_global_offset_y
      - .offset:         128
        .size:           8
        .value_kind:     hidden_global_offset_z
      - .offset:         136
        .size:           2
        .value_kind:     hidden_grid_dims
    .group_segment_fixed_size: 0
    .kernarg_segment_align: 8
    .kernarg_segment_size: 328
    .language:       OpenCL C
    .language_version:
      - 2
      - 0
    .max_flat_workgroup_size: 512
    .name:           _ZN9rocsparseL20coo2dense_aos_kernelILj512El21rocsparse_complex_numIdEEEvT0_S3_ll21rocsparse_index_base_PKT1_PKS3_PS5_16rocsparse_order_
    .private_segment_fixed_size: 0
    .sgpr_count:     19
    .sgpr_spill_count: 0
    .symbol:         _ZN9rocsparseL20coo2dense_aos_kernelILj512El21rocsparse_complex_numIdEEEvT0_S3_ll21rocsparse_index_base_PKT1_PKS3_PS5_16rocsparse_order_.kd
    .uniform_work_group_size: 1
    .uses_dynamic_stack: false
    .vgpr_count:     14
    .vgpr_spill_count: 0
    .wavefront_size: 32
amdhsa.target:   amdgcn-amd-amdhsa--gfx1250
amdhsa.version:
  - 1
  - 2
...

	.end_amdgpu_metadata
